;; amdgpu-corpus repo=pytorch/pytorch kind=compiled arch=gfx1201 opt=O3
	.amdgcn_target "amdgcn-amd-amdhsa--gfx1201"
	.amdhsa_code_object_version 6
	.section	.text._ZN2at6native12_GLOBAL__N_129ctc_loss_log_alpha_gpu_kernelIdlEEvPT_PKS3_PKllPKT0_S8_lS4_llllllS8_lll,"axG",@progbits,_ZN2at6native12_GLOBAL__N_129ctc_loss_log_alpha_gpu_kernelIdlEEvPT_PKS3_PKllPKT0_S8_lS4_llllllS8_lll,comdat
	.globl	_ZN2at6native12_GLOBAL__N_129ctc_loss_log_alpha_gpu_kernelIdlEEvPT_PKS3_PKllPKT0_S8_lS4_llllllS8_lll ; -- Begin function _ZN2at6native12_GLOBAL__N_129ctc_loss_log_alpha_gpu_kernelIdlEEvPT_PKS3_PKllPKT0_S8_lS4_llllllS8_lll
	.p2align	8
	.type	_ZN2at6native12_GLOBAL__N_129ctc_loss_log_alpha_gpu_kernelIdlEEvPT_PKS3_PKllPKT0_S8_lS4_llllllS8_lll,@function
_ZN2at6native12_GLOBAL__N_129ctc_loss_log_alpha_gpu_kernelIdlEEvPT_PKS3_PKllPKT0_S8_lS4_llllllS8_lll: ; @_ZN2at6native12_GLOBAL__N_129ctc_loss_log_alpha_gpu_kernelIdlEEvPT_PKS3_PKllPKT0_S8_lS4_llllllS8_lll
; %bb.0:
	s_clause 0x1
	s_load_u16 s2, s[0:1], 0x9e
	s_load_b128 s[16:19], s[0:1], 0x78
	v_bfe_u32 v1, v0, 10, 10
	s_wait_kmcnt 0x0
	s_delay_alu instid0(VALU_DEP_1) | instskip(SKIP_2) | instid1(VALU_DEP_1)
	v_mad_co_u64_u32 v[7:8], null, ttmp7, s2, v[1:2]
	v_mov_b32_e32 v8, 0
	s_mov_b32 s2, exec_lo
	v_cmpx_gt_i64_e64 s[18:19], v[7:8]
	s_cbranch_execz .LBB0_53
; %bb.1:
	s_clause 0x1
	s_load_b64 s[2:3], s[0:1], 0x10
	s_load_b64 s[4:5], s[0:1], 0x28
	v_lshlrev_b64_e32 v[1:2], 3, v[7:8]
	s_load_b64 s[18:19], s[0:1], 0x38
	s_wait_kmcnt 0x0
	s_delay_alu instid0(VALU_DEP_1) | instskip(NEXT) | instid1(VALU_DEP_1)
	v_add_co_u32 v3, vcc_lo, s2, v1
	v_add_co_ci_u32_e64 v4, null, s3, v2, vcc_lo
	s_mov_b32 s2, exec_lo
	global_load_b64 v[5:6], v[3:4], off
	v_add_co_u32 v3, vcc_lo, s4, v1
	s_wait_alu 0xfffd
	v_add_co_ci_u32_e64 v4, null, s5, v2, vcc_lo
	global_load_b64 v[3:4], v[3:4], off
	s_wait_loadcnt 0x1
	v_cmpx_ne_u64_e32 0, v[5:6]
	s_wait_alu 0xfffe
	s_xor_b32 s33, exec_lo, s2
	s_cbranch_execz .LBB0_50
; %bb.2:
	s_clause 0x3
	s_load_b64 s[2:3], s[0:1], 0x70
	s_load_b128 s[12:15], s[0:1], 0x60
	s_load_b256 s[4:11], s[0:1], 0x40
	s_load_b64 s[24:25], s[0:1], 0x88
	v_and_b32_e32 v0, 0x3ff, v0
	s_wait_kmcnt 0x0
	v_add_co_u32 v8, vcc_lo, s2, v1
	s_wait_alu 0xfffd
	v_add_co_ci_u32_e64 v9, null, s3, v2, vcc_lo
	v_mad_co_u64_u32 v[13:14], null, s10, v7, 0
	v_mad_co_u64_u32 v[10:11], null, s6, v7, 0
	global_load_b64 v[8:9], v[8:9], off
	s_clause 0x2
	s_load_b64 s[26:27], s[0:1], 0x30
	s_load_b128 s[20:23], s[0:1], 0x0
	s_load_b64 s[34:35], s[0:1], 0x20
	v_mov_b32_e32 v12, v14
	s_delay_alu instid0(VALU_DEP_1)
	v_mad_co_u64_u32 v[14:15], null, s7, v7, v[11:12]
	s_add_nc_u64 s[6:7], s[0:1], 0x90
	v_mov_b32_e32 v11, v14
	v_mad_co_u64_u32 v[15:16], null, s11, v7, v[12:13]
	s_wait_kmcnt 0x0
	v_cmp_gt_i64_e64 s3, s[26:27], -1
	s_lshl_b64 s[10:11], s[26:27], 1
	v_lshlrev_b64_e32 v[19:20], 3, v[10:11]
	v_mov_b32_e32 v14, v15
	s_and_b32 vcc_lo, exec_lo, s3
	s_wait_loadcnt 0x0
	v_lshlrev_b64_e32 v[11:12], 3, v[8:9]
	s_delay_alu instid0(VALU_DEP_2)
	v_lshlrev_b64_e32 v[7:8], 3, v[13:14]
	s_wait_alu 0xfffe
	s_cbranch_vccz .LBB0_17
; %bb.3:
	v_mad_co_u64_u32 v[13:14], null, s14, v0, 0
	s_load_b32 s26, s[6:7], 0xc
	s_mul_u64 s[28:29], s[24:25], s[8:9]
	s_mov_b32 s27, 0
	s_lshl_b64 s[28:29], s[28:29], 3
	v_cmp_ne_u64_e64 s2, 0, v[3:4]
	v_mov_b32_e32 v9, v14
	s_delay_alu instid0(VALU_DEP_1) | instskip(SKIP_4) | instid1(VALU_DEP_4)
	v_mad_co_u64_u32 v[14:15], null, s15, v0, v[9:10]
	v_add_co_u32 v9, vcc_lo, s34, v11
	s_wait_alu 0xfffd
	v_add_co_ci_u32_e64 v10, null, s35, v12, vcc_lo
	v_add_co_u32 v23, vcc_lo, s22, v19
	v_lshlrev_b64_e32 v[15:16], 3, v[13:14]
	s_wait_alu 0xfffd
	v_add_co_ci_u32_e64 v24, null, s23, v20, vcc_lo
	s_delay_alu instid0(VALU_DEP_3)
	v_add_co_u32 v13, vcc_lo, v23, s28
	s_wait_kmcnt 0x0
	s_and_b32 s26, s26, 0xffff
	s_wait_alu 0xfffd
	v_add_co_ci_u32_e64 v14, null, s29, v24, vcc_lo
	v_add_co_u32 v15, vcc_lo, v15, v7
	s_wait_alu 0xfffd
	v_add_co_ci_u32_e64 v16, null, v16, v8, vcc_lo
	s_wait_alu 0xfffe
	s_mul_u64 s[30:31], s[14:15], s[26:27]
	v_add_co_u32 v15, vcc_lo, s20, v15
	s_wait_alu 0xfffd
	v_add_co_ci_u32_e64 v16, null, s21, v16, vcc_lo
	s_mov_b64 s[28:29], 0
	s_lshl_b64 s[30:31], s[30:31], 3
	s_branch .LBB0_5
.LBB0_4:                                ;   in Loop: Header=BB0_5 Depth=1
	s_wait_alu 0xfffe
	s_or_b32 exec_lo, exec_lo, s36
	s_add_nc_u64 s[28:29], s[28:29], s[26:27]
	v_add_co_u32 v15, vcc_lo, v15, s30
	s_wait_alu 0xfffe
	v_cmp_gt_i64_e64 s36, s[28:29], s[10:11]
	s_wait_alu 0xfffd
	v_add_co_ci_u32_e64 v16, null, s31, v16, vcc_lo
	s_and_b32 vcc_lo, exec_lo, s36
	s_wait_alu 0xfffe
	s_cbranch_vccnz .LBB0_17
.LBB0_5:                                ; =>This Inner Loop Header: Depth=1
	s_wait_alu 0xfffe
	v_add_co_u32 v17, s36, v0, s28
	s_wait_alu 0xf1ff
	v_add_co_ci_u32_e64 v18, null, 0, s29, s36
	s_mov_b32 s36, exec_lo
                                        ; implicit-def: $vgpr21_vgpr22
	v_cmpx_lt_i64_e32 0, v[17:18]
	s_wait_alu 0xfffe
	s_xor_b32 s36, exec_lo, s36
	s_cbranch_execnz .LBB0_8
; %bb.6:                                ;   in Loop: Header=BB0_5 Depth=1
	s_wait_alu 0xfffe
	s_and_not1_saveexec_b32 s36, s36
	s_cbranch_execnz .LBB0_13
.LBB0_7:                                ;   in Loop: Header=BB0_5 Depth=1
	s_wait_alu 0xfffe
	s_or_b32 exec_lo, exec_lo, s36
	s_delay_alu instid0(SALU_CYCLE_1)
	s_mov_b32 s36, exec_lo
	v_cmpx_ge_i64_e64 s[10:11], v[17:18]
	s_cbranch_execz .LBB0_4
	s_branch .LBB0_16
.LBB0_8:                                ;   in Loop: Header=BB0_5 Depth=1
	s_wait_loadcnt 0x0
	v_mov_b32_e32 v21, 0
	v_mov_b32_e32 v22, 0xfff00000
	s_mov_b32 s37, exec_lo
	v_cmpx_eq_u64_e32 1, v[17:18]
	s_cbranch_execz .LBB0_12
; %bb.9:                                ;   in Loop: Header=BB0_5 Depth=1
	v_mov_b32_e32 v21, 0
	v_mov_b32_e32 v22, 0xfff00000
	s_and_saveexec_b32 s38, s2
	s_cbranch_execz .LBB0_11
; %bb.10:                               ;   in Loop: Header=BB0_5 Depth=1
	global_load_b64 v[21:22], v[9:10], off
	s_wait_loadcnt 0x0
	v_mul_lo_u32 v25, v22, s8
	v_mul_lo_u32 v26, v21, s9
	v_mad_co_u64_u32 v[21:22], null, v21, s8, 0
	s_delay_alu instid0(VALU_DEP_1) | instskip(NEXT) | instid1(VALU_DEP_1)
	v_add3_u32 v22, v22, v26, v25
	v_lshlrev_b64_e32 v[21:22], 3, v[21:22]
	s_delay_alu instid0(VALU_DEP_1) | instskip(SKIP_1) | instid1(VALU_DEP_2)
	v_add_co_u32 v21, vcc_lo, v23, v21
	s_wait_alu 0xfffd
	v_add_co_ci_u32_e64 v22, null, v24, v22, vcc_lo
	global_load_b64 v[21:22], v[21:22], off
.LBB0_11:                               ;   in Loop: Header=BB0_5 Depth=1
	s_or_b32 exec_lo, exec_lo, s38
.LBB0_12:                               ;   in Loop: Header=BB0_5 Depth=1
	s_wait_alu 0xfffe
	s_or_b32 exec_lo, exec_lo, s37
	s_and_not1_saveexec_b32 s36, s36
	s_cbranch_execz .LBB0_7
.LBB0_13:                               ;   in Loop: Header=BB0_5 Depth=1
	s_wait_loadcnt 0x0
	v_mov_b32_e32 v21, 0
	v_mov_b32_e32 v22, 0xfff00000
	s_mov_b32 s37, exec_lo
	v_cmpx_eq_u64_e32 0, v[17:18]
	s_cbranch_execz .LBB0_15
; %bb.14:                               ;   in Loop: Header=BB0_5 Depth=1
	global_load_b64 v[21:22], v[13:14], off
.LBB0_15:                               ;   in Loop: Header=BB0_5 Depth=1
	s_wait_alu 0xfffe
	s_or_b32 exec_lo, exec_lo, s37
	s_delay_alu instid0(SALU_CYCLE_1) | instskip(NEXT) | instid1(SALU_CYCLE_1)
	s_or_b32 exec_lo, exec_lo, s36
	s_mov_b32 s36, exec_lo
	v_cmpx_ge_i64_e64 s[10:11], v[17:18]
	s_cbranch_execz .LBB0_4
.LBB0_16:                               ;   in Loop: Header=BB0_5 Depth=1
	s_wait_loadcnt 0x0
	global_store_b64 v[15:16], v[21:22], off
	s_branch .LBB0_4
.LBB0_17:
	v_cmp_lt_i64_e64 s2, 0, v[3:4]
	s_and_not1_b32 vcc_lo, exec_lo, s3
	s_wait_alu 0xfffe
	s_cbranch_vccnz .LBB0_45
; %bb.18:
	v_mad_co_u64_u32 v[13:14], null, s14, v0, 0
	s_load_b32 s3, s[6:7], 0xc
	s_load_b64 s[26:27], s[0:1], 0x18
	v_add_co_u32 v16, s0, v0, -2
	v_add_co_u32 v39, vcc_lo, s34, v11
	s_wait_alu 0xf1ff
	v_add_co_ci_u32_e64 v11, null, 0, -1, s0
	v_add_co_u32 v17, s0, v0, -1
	s_wait_alu 0xf1ff
	v_add_co_ci_u32_e64 v18, null, 0, -1, s0
	v_mad_co_u64_u32 v[14:15], null, s15, v0, v[14:15]
	s_wait_alu 0xfffd
	v_add_co_ci_u32_e64 v40, null, s35, v12, vcc_lo
	v_mul_lo_u32 v12, s15, v16
	v_mul_lo_u32 v11, s14, v11
	v_mad_co_u64_u32 v[15:16], null, s14, v16, 0
	s_wait_loadcnt 0x0
	v_mul_lo_u32 v21, s15, v17
	v_mul_lo_u32 v22, s14, v18
	v_mad_co_u64_u32 v[17:18], null, s14, v17, 0
	v_lshlrev_b64_e32 v[13:14], 3, v[13:14]
	s_lshl_b64 s[34:35], s[12:13], 3
	v_add3_u32 v16, v16, v11, v12
	s_wait_alu 0xfffe
	s_add_nc_u64 s[0:1], s[20:21], s[34:35]
	s_lshl_b64 s[38:39], s[4:5], 3
	s_mov_b32 s29, 0
	v_add3_u32 v18, v18, v22, v21
	v_lshlrev_b64_e32 v[15:16], 3, v[15:16]
	s_wait_alu 0xfffe
	v_add_co_u32 v11, vcc_lo, s0, v13
	s_wait_alu 0xfffd
	v_add_co_ci_u32_e64 v12, null, s1, v14, vcc_lo
	v_lshlrev_b64_e32 v[17:18], 3, v[17:18]
	v_add_co_u32 v13, vcc_lo, s20, v13
	s_wait_alu 0xfffd
	v_add_co_ci_u32_e64 v14, null, s21, v14, vcc_lo
	v_add_co_u32 v15, vcc_lo, s20, v15
	s_wait_alu 0xfffd
	v_add_co_ci_u32_e64 v16, null, s21, v16, vcc_lo
	v_add_co_u32 v17, vcc_lo, s20, v17
	s_add_nc_u64 s[0:1], s[22:23], s[38:39]
	s_wait_alu 0xfffd
	v_add_co_ci_u32_e64 v18, null, s21, v18, vcc_lo
	s_wait_alu 0xfffe
	v_add_co_u32 v19, vcc_lo, s0, v19
	v_lshlrev_b64_e32 v[9:10], 1, v[3:4]
	s_wait_kmcnt 0x0
	s_and_b32 s28, s3, 0xffff
	v_cmp_gt_i64_e64 s86, s[26:27], 1
	s_wait_alu 0xfffd
	v_add_co_ci_u32_e64 v20, null, s1, v20, vcc_lo
	s_wait_alu 0xfffe
	s_mul_u64 s[6:7], s[14:15], s[28:29]
	s_mov_b32 s22, 0x652b82fe
	s_mov_b32 s40, 0xfefa39ef
	;; [unrolled: 1-line block ×20, first 2 shown]
	s_mov_b64 s[30:31], 0
	s_wait_alu 0xfffe
	s_lshl_b64 s[36:37], s[6:7], 3
	s_lshl_b64 s[8:9], s[8:9], 3
	s_mov_b32 s23, 0x3ff71547
	s_mov_b32 s41, 0xbfe62e42
	;; [unrolled: 1-line block ×23, first 2 shown]
	s_branch .LBB0_20
.LBB0_19:                               ;   in Loop: Header=BB0_20 Depth=1
	v_add_co_u32 v11, vcc_lo, v11, s36
	s_wait_alu 0xfffd
	v_add_co_ci_u32_e64 v12, null, s37, v12, vcc_lo
	v_add_co_u32 v13, vcc_lo, v13, s36
	s_add_nc_u64 s[30:31], s[30:31], s[28:29]
	s_wait_alu 0xfffd
	v_add_co_ci_u32_e64 v14, null, s37, v14, vcc_lo
	v_add_co_u32 v15, vcc_lo, v15, s36
	s_wait_alu 0xfffe
	v_cmp_gt_i64_e64 s0, s[30:31], s[10:11]
	s_wait_alu 0xfffd
	v_add_co_ci_u32_e64 v16, null, s37, v16, vcc_lo
	v_add_co_u32 v17, vcc_lo, v17, s36
	s_wait_alu 0xfffd
	v_add_co_ci_u32_e64 v18, null, s37, v18, vcc_lo
	s_and_b32 vcc_lo, exec_lo, s0
	s_wait_alu 0xfffe
	s_cbranch_vccnz .LBB0_45
.LBB0_20:                               ; =>This Loop Header: Depth=1
                                        ;     Child Loop BB0_31 Depth 2
	v_add_co_u32 v23, s0, s30, v0
	s_wait_alu 0xf1ff
	v_add_co_ci_u32_e64 v24, null, s31, 0, s0
	s_wait_loadcnt 0x0
	v_dual_mov_b32 v26, s25 :: v_dual_mov_b32 v25, s24
	s_mov_b32 s87, 0
	s_delay_alu instid0(VALU_DEP_2)
	v_cmp_le_i64_e64 s1, v[23:24], v[9:10]
	s_and_b32 s0, s2, s1
	s_wait_alu 0xfffe
	s_and_saveexec_b32 s3, s0
	s_cbranch_execz .LBB0_28
; %bb.21:                               ;   in Loop: Header=BB0_20 Depth=1
	v_dual_mov_b32 v26, s25 :: v_dual_and_b32 v21, 1, v23
	v_mov_b32_e32 v25, s24
	s_delay_alu instid0(VALU_DEP_2)
	v_cmp_eq_u32_e32 vcc_lo, 1, v21
	s_and_saveexec_b32 s4, vcc_lo
	s_cbranch_execz .LBB0_23
; %bb.22:                               ;   in Loop: Header=BB0_20 Depth=1
	v_alignbit_b32 v21, v24, v23, 1
	v_lshrrev_b32_e32 v25, 1, v24
	s_delay_alu instid0(VALU_DEP_2) | instskip(SKIP_1) | instid1(VALU_DEP_3)
	v_mul_lo_u32 v26, v21, s17
	v_mad_co_u64_u32 v[21:22], null, v21, s16, 0
	v_mul_lo_u32 v25, v25, s16
	s_delay_alu instid0(VALU_DEP_1) | instskip(NEXT) | instid1(VALU_DEP_1)
	v_add3_u32 v22, v22, v26, v25
	v_lshlrev_b64_e32 v[21:22], 3, v[21:22]
	s_delay_alu instid0(VALU_DEP_1) | instskip(SKIP_1) | instid1(VALU_DEP_2)
	v_add_co_u32 v21, s0, v39, v21
	s_wait_alu 0xf1ff
	v_add_co_ci_u32_e64 v22, null, v40, v22, s0
	global_load_b64 v[25:26], v[21:22], off
.LBB0_23:                               ;   in Loop: Header=BB0_20 Depth=1
	s_wait_alu 0xfffe
	s_or_b32 exec_lo, exec_lo, s4
	s_mov_b32 s5, 0
	s_mov_b32 s4, exec_lo
	v_cmpx_lt_u64_e32 1, v[23:24]
	s_cbranch_execz .LBB0_27
; %bb.24:                               ;   in Loop: Header=BB0_20 Depth=1
	v_dual_mov_b32 v21, s24 :: v_dual_mov_b32 v22, s25
	s_and_saveexec_b32 s0, vcc_lo
	s_cbranch_execz .LBB0_26
; %bb.25:                               ;   in Loop: Header=BB0_20 Depth=1
	v_add_co_u32 v21, vcc_lo, v23, -2
	s_wait_alu 0xfffd
	v_add_co_ci_u32_e64 v22, null, -1, v24, vcc_lo
	s_delay_alu instid0(VALU_DEP_1) | instskip(NEXT) | instid1(VALU_DEP_1)
	v_lshrrev_b32_e32 v27, 31, v22
	v_add_co_u32 v21, vcc_lo, v21, v27
	s_wait_alu 0xfffd
	v_add_co_ci_u32_e64 v22, null, 0, v22, vcc_lo
	s_delay_alu instid0(VALU_DEP_1) | instskip(NEXT) | instid1(VALU_DEP_1)
	v_ashrrev_i64 v[21:22], 1, v[21:22]
	v_mul_lo_u32 v27, v22, s16
	s_delay_alu instid0(VALU_DEP_2) | instskip(SKIP_1) | instid1(VALU_DEP_1)
	v_mul_lo_u32 v28, v21, s17
	v_mad_co_u64_u32 v[21:22], null, v21, s16, 0
	v_add3_u32 v22, v22, v28, v27
	s_delay_alu instid0(VALU_DEP_1) | instskip(NEXT) | instid1(VALU_DEP_1)
	v_lshlrev_b64_e32 v[21:22], 3, v[21:22]
	v_add_co_u32 v21, vcc_lo, v39, v21
	s_wait_alu 0xfffd
	s_delay_alu instid0(VALU_DEP_2)
	v_add_co_ci_u32_e64 v22, null, v40, v22, vcc_lo
	global_load_b64 v[21:22], v[21:22], off
.LBB0_26:                               ;   in Loop: Header=BB0_20 Depth=1
	s_wait_alu 0xfffe
	s_or_b32 exec_lo, exec_lo, s0
	s_wait_loadcnt 0x0
	v_cmp_ne_u64_e32 vcc_lo, v[21:22], v[25:26]
	s_and_b32 s5, vcc_lo, exec_lo
.LBB0_27:                               ;   in Loop: Header=BB0_20 Depth=1
	s_wait_alu 0xfffe
	s_or_b32 exec_lo, exec_lo, s4
	s_delay_alu instid0(SALU_CYCLE_1)
	s_and_b32 s87, s5, exec_lo
.LBB0_28:                               ;   in Loop: Header=BB0_20 Depth=1
	s_wait_alu 0xfffe
	s_or_b32 exec_lo, exec_lo, s3
	s_delay_alu instid0(SALU_CYCLE_1)
	s_and_not1_b32 vcc_lo, exec_lo, s86
	s_wait_alu 0xfffe
	s_cbranch_vccnz .LBB0_19
; %bb.29:                               ;   in Loop: Header=BB0_20 Depth=1
	s_wait_loadcnt 0x0
	v_mad_co_u64_u32 v[21:22], null, s8, v25, v[19:20]
	v_mul_lo_u32 v27, s8, v26
	v_mul_lo_u32 v28, s9, v25
	v_cmp_ne_u64_e64 s0, 0, v[23:24]
	v_cmp_ge_i64_e32 vcc_lo, s[10:11], v[23:24]
	v_dual_mov_b32 v24, v18 :: v_dual_mov_b32 v23, v17
	v_dual_mov_b32 v26, v16 :: v_dual_mov_b32 v25, v15
	;; [unrolled: 1-line block ×3, first 2 shown]
	v_add3_u32 v22, v28, v22, v27
	v_dual_mov_b32 v28, v14 :: v_dual_mov_b32 v27, v13
	s_mov_b64 s[84:85], 1
	s_xor_b32 s88, s1, -1
	s_branch .LBB0_31
.LBB0_30:                               ;   in Loop: Header=BB0_31 Depth=2
	s_wait_alu 0xfffe
	s_or_b32 exec_lo, exec_lo, s3
	v_add_co_u32 v29, s1, v29, s34
	s_wait_alu 0xf1ff
	v_add_co_ci_u32_e64 v30, null, s35, v30, s1
	v_add_co_u32 v27, s1, v27, s34
	s_wait_alu 0xf1ff
	v_add_co_ci_u32_e64 v28, null, s35, v28, s1
	;; [unrolled: 3-line block ×5, first 2 shown]
	s_add_nc_u64 s[84:85], s[84:85], 1
	s_wait_alu 0xfffe
	s_cmp_eq_u64 s[26:27], s[84:85]
	s_cbranch_scc1 .LBB0_19
.LBB0_31:                               ;   Parent Loop BB0_20 Depth=1
                                        ; =>  This Inner Loop Header: Depth=2
	s_wait_alu 0xfffe
	v_cmp_ge_i64_e64 s1, s[84:85], v[5:6]
	s_mov_b32 s89, 0
	s_wait_storecnt 0x0
	s_barrier_signal -1
	s_barrier_wait -1
	global_inv scope:SCOPE_SE
	s_or_b32 s1, s88, s1
	s_wait_alu 0xfffe
	s_and_saveexec_b32 s3, s1
	s_wait_alu 0xfffe
	s_xor_b32 s1, exec_lo, s3
; %bb.32:                               ;   in Loop: Header=BB0_31 Depth=2
	s_and_b32 s89, vcc_lo, exec_lo
; %bb.33:                               ;   in Loop: Header=BB0_31 Depth=2
	s_wait_alu 0xfffe
	s_or_saveexec_b32 s90, s1
	v_mov_b32_e32 v31, 0
	v_mov_b32_e32 v32, 0xfff00000
	s_xor_b32 exec_lo, exec_lo, s90
	s_cbranch_execz .LBB0_43
; %bb.34:                               ;   in Loop: Header=BB0_31 Depth=2
	v_add_co_u32 v31, s1, v27, v7
	s_wait_alu 0xf1ff
	v_add_co_ci_u32_e64 v32, null, v28, v8, s1
	v_mov_b32_e32 v33, 0
	v_mov_b32_e32 v34, 0xfff00000
	global_load_b64 v[35:36], v[31:32], off
	v_mov_b32_e32 v31, 0
	v_mov_b32_e32 v32, 0xfff00000
	s_wait_loadcnt 0x0
	v_dual_mov_b32 v38, v36 :: v_dual_mov_b32 v37, v35
	s_and_saveexec_b32 s3, s0
	s_cbranch_execz .LBB0_38
; %bb.35:                               ;   in Loop: Header=BB0_31 Depth=2
	v_add_co_u32 v33, s1, v23, v7
	s_wait_alu 0xf1ff
	v_add_co_ci_u32_e64 v34, null, v24, v8, s1
	v_dual_mov_b32 v38, v36 :: v_dual_mov_b32 v37, v35
	s_mov_b32 s4, exec_lo
	global_load_b64 v[33:34], v[33:34], off
	s_wait_loadcnt 0x0
	v_cmpx_gt_f64_e32 v[33:34], v[35:36]
; %bb.36:                               ;   in Loop: Header=BB0_31 Depth=2
	v_dual_mov_b32 v38, v34 :: v_dual_mov_b32 v37, v33
; %bb.37:                               ;   in Loop: Header=BB0_31 Depth=2
	s_wait_alu 0xfffe
	s_or_b32 exec_lo, exec_lo, s4
.LBB0_38:                               ;   in Loop: Header=BB0_31 Depth=2
	s_wait_alu 0xfffe
	s_or_b32 exec_lo, exec_lo, s3
	s_and_saveexec_b32 s3, s87
	s_cbranch_execz .LBB0_42
; %bb.39:                               ;   in Loop: Header=BB0_31 Depth=2
	v_add_co_u32 v31, s1, v25, v7
	s_wait_alu 0xf1ff
	v_add_co_ci_u32_e64 v32, null, v26, v8, s1
	s_mov_b32 s4, exec_lo
	global_load_b64 v[31:32], v[31:32], off
	s_wait_loadcnt 0x0
	v_cmpx_gt_f64_e32 v[31:32], v[37:38]
; %bb.40:                               ;   in Loop: Header=BB0_31 Depth=2
	v_dual_mov_b32 v38, v32 :: v_dual_mov_b32 v37, v31
; %bb.41:                               ;   in Loop: Header=BB0_31 Depth=2
	s_wait_alu 0xfffe
	s_or_b32 exec_lo, exec_lo, s4
.LBB0_42:                               ;   in Loop: Header=BB0_31 Depth=2
	s_wait_alu 0xfffe
	s_or_b32 exec_lo, exec_lo, s3
	v_cmp_neq_f64_e64 s1, 0xfff00000, v[37:38]
	s_mov_b32 s79, s65
	s_mov_b32 s80, s40
	;; [unrolled: 1-line block ×3, first 2 shown]
	s_or_b32 s89, s89, exec_lo
	v_cndmask_b32_e64 v38, 0, v38, s1
	v_cndmask_b32_e64 v37, 0, v37, s1
	s_delay_alu instid0(VALU_DEP_1) | instskip(SKIP_2) | instid1(VALU_DEP_3)
	v_add_f64_e64 v[35:36], v[35:36], -v[37:38]
	v_add_f64_e64 v[33:34], v[33:34], -v[37:38]
	v_add_f64_e64 v[31:32], v[31:32], -v[37:38]
	v_mul_f64_e32 v[41:42], s[22:23], v[35:36]
	s_delay_alu instid0(VALU_DEP_3) | instskip(NEXT) | instid1(VALU_DEP_3)
	v_mul_f64_e32 v[43:44], s[22:23], v[33:34]
	v_mul_f64_e32 v[45:46], s[22:23], v[31:32]
	v_cmp_nlt_f64_e64 s1, 0x40900000, v[35:36]
	v_cmp_nlt_f64_e64 s4, 0x40900000, v[33:34]
	v_cmp_ngt_f64_e64 s3, 0xc090cc00, v[35:36]
	v_cmp_ngt_f64_e64 s5, 0xc090cc00, v[33:34]
	v_cmp_nlt_f64_e64 s6, 0x40900000, v[31:32]
	v_cmp_ngt_f64_e64 s7, 0xc090cc00, v[31:32]
	v_rndne_f64_e32 v[41:42], v[41:42]
	v_rndne_f64_e32 v[43:44], v[43:44]
	;; [unrolled: 1-line block ×3, first 2 shown]
	s_delay_alu instid0(VALU_DEP_3) | instskip(NEXT) | instid1(VALU_DEP_3)
	v_fma_f64 v[47:48], v[41:42], s[40:41], v[35:36]
	v_fma_f64 v[49:50], v[43:44], s[40:41], v[33:34]
	s_delay_alu instid0(VALU_DEP_3) | instskip(SKIP_1) | instid1(VALU_DEP_4)
	v_fma_f64 v[51:52], v[45:46], s[40:41], v[31:32]
	v_cvt_i32_f64_e32 v59, v[41:42]
	v_fma_f64 v[47:48], v[41:42], s[42:43], v[47:48]
	s_delay_alu instid0(VALU_DEP_4) | instskip(NEXT) | instid1(VALU_DEP_4)
	v_fma_f64 v[49:50], v[43:44], s[42:43], v[49:50]
	v_fma_f64 v[51:52], v[45:46], s[42:43], v[51:52]
	s_delay_alu instid0(VALU_DEP_3) | instskip(NEXT) | instid1(VALU_DEP_3)
	v_fma_f64 v[53:54], v[47:48], s[46:47], s[44:45]
	v_fma_f64 v[55:56], v[49:50], s[46:47], s[44:45]
	s_delay_alu instid0(VALU_DEP_3) | instskip(NEXT) | instid1(VALU_DEP_3)
	;; [unrolled: 3-line block ×14, first 2 shown]
	v_fma_f64 v[57:58], v[51:52], v[57:58], s[62:63]
	v_fma_f64 v[53:54], v[47:48], v[53:54], 1.0
	s_delay_alu instid0(VALU_DEP_3) | instskip(NEXT) | instid1(VALU_DEP_3)
	v_fma_f64 v[55:56], v[49:50], v[55:56], 1.0
	v_fma_f64 v[57:58], v[51:52], v[57:58], 1.0
	s_delay_alu instid0(VALU_DEP_3) | instskip(SKIP_1) | instid1(VALU_DEP_4)
	v_fma_f64 v[41:42], v[47:48], v[53:54], 1.0
	v_cvt_i32_f64_e32 v47, v[43:44]
	v_fma_f64 v[43:44], v[49:50], v[55:56], 1.0
	v_cvt_i32_f64_e32 v48, v[45:46]
	v_fma_f64 v[45:46], v[51:52], v[57:58], 1.0
	v_ldexp_f64 v[41:42], v[41:42], v59
	s_delay_alu instid0(VALU_DEP_4) | instskip(NEXT) | instid1(VALU_DEP_3)
	v_ldexp_f64 v[43:44], v[43:44], v47
	v_ldexp_f64 v[45:46], v[45:46], v48
	s_wait_alu 0xf1ff
	s_delay_alu instid0(VALU_DEP_3) | instskip(SKIP_1) | instid1(VALU_DEP_3)
	v_cndmask_b32_e64 v42, 0x7ff00000, v42, s1
	s_and_b32 s1, s3, s1
	v_cndmask_b32_e64 v35, 0x7ff00000, v44, s4
	s_wait_alu 0xfffe
	v_cndmask_b32_e64 v31, 0, v41, s1
	s_and_b32 s1, s5, s4
	v_cndmask_b32_e64 v32, 0, v42, s3
	s_wait_alu 0xfffe
	v_cndmask_b32_e64 v33, 0, v43, s1
	v_cndmask_b32_e64 v34, 0, v35, s5
	;; [unrolled: 1-line block ×3, first 2 shown]
	s_and_b32 s1, s7, s6
	s_delay_alu instid0(VALU_DEP_2) | instskip(NEXT) | instid1(VALU_DEP_2)
	v_add_f64_e32 v[31:32], v[31:32], v[33:34]
	v_cndmask_b32_e64 v34, 0, v36, s7
	s_wait_alu 0xfffe
	v_cndmask_b32_e64 v33, 0, v45, s1
	s_delay_alu instid0(VALU_DEP_1) | instskip(NEXT) | instid1(VALU_DEP_1)
	v_add_f64_e32 v[31:32], v[33:34], v[31:32]
	v_frexp_mant_f64_e32 v[33:34], v[31:32]
	s_delay_alu instid0(VALU_DEP_1) | instskip(SKIP_1) | instid1(VALU_DEP_1)
	v_cmp_gt_f64_e64 s1, s[64:65], v[33:34]
	s_wait_alu 0xf1ff
	v_cndmask_b32_e64 v35, 0, 1, s1
	s_delay_alu instid0(VALU_DEP_1) | instskip(NEXT) | instid1(VALU_DEP_1)
	v_ldexp_f64 v[33:34], v[33:34], v35
	v_add_f64_e32 v[35:36], 1.0, v[33:34]
	v_add_f64_e32 v[45:46], -1.0, v[33:34]
	s_delay_alu instid0(VALU_DEP_2) | instskip(SKIP_1) | instid1(VALU_DEP_1)
	v_rcp_f64_e32 v[41:42], v[35:36]
	v_add_f64_e32 v[47:48], -1.0, v[35:36]
	v_add_f64_e64 v[33:34], v[33:34], -v[47:48]
	s_delay_alu instid0(TRANS32_DEP_1) | instskip(NEXT) | instid1(VALU_DEP_1)
	v_fma_f64 v[43:44], -v[35:36], v[41:42], 1.0
	v_fma_f64 v[41:42], v[43:44], v[41:42], v[41:42]
	s_delay_alu instid0(VALU_DEP_1) | instskip(NEXT) | instid1(VALU_DEP_1)
	v_fma_f64 v[43:44], -v[35:36], v[41:42], 1.0
	v_fma_f64 v[41:42], v[43:44], v[41:42], v[41:42]
	s_delay_alu instid0(VALU_DEP_1) | instskip(NEXT) | instid1(VALU_DEP_1)
	v_mul_f64_e32 v[43:44], v[45:46], v[41:42]
	v_mul_f64_e32 v[49:50], v[35:36], v[43:44]
	s_delay_alu instid0(VALU_DEP_1) | instskip(NEXT) | instid1(VALU_DEP_1)
	v_fma_f64 v[35:36], v[43:44], v[35:36], -v[49:50]
	v_fma_f64 v[33:34], v[43:44], v[33:34], v[35:36]
	s_delay_alu instid0(VALU_DEP_1) | instskip(NEXT) | instid1(VALU_DEP_1)
	v_add_f64_e32 v[35:36], v[49:50], v[33:34]
	v_add_f64_e64 v[47:48], v[45:46], -v[35:36]
	v_add_f64_e64 v[49:50], v[35:36], -v[49:50]
	s_delay_alu instid0(VALU_DEP_2) | instskip(NEXT) | instid1(VALU_DEP_2)
	v_add_f64_e64 v[45:46], v[45:46], -v[47:48]
	v_add_f64_e64 v[33:34], v[49:50], -v[33:34]
	v_frexp_exp_i32_f64_e32 v49, v[31:32]
	s_delay_alu instid0(VALU_DEP_3) | instskip(NEXT) | instid1(VALU_DEP_1)
	v_add_f64_e64 v[35:36], v[45:46], -v[35:36]
	v_add_f64_e32 v[33:34], v[33:34], v[35:36]
	s_delay_alu instid0(VALU_DEP_1) | instskip(NEXT) | instid1(VALU_DEP_1)
	v_add_f64_e32 v[33:34], v[47:48], v[33:34]
	v_mul_f64_e32 v[33:34], v[41:42], v[33:34]
	s_delay_alu instid0(VALU_DEP_1) | instskip(NEXT) | instid1(VALU_DEP_1)
	v_add_f64_e32 v[35:36], v[43:44], v[33:34]
	v_mul_f64_e32 v[41:42], v[35:36], v[35:36]
	s_delay_alu instid0(VALU_DEP_1) | instskip(SKIP_1) | instid1(VALU_DEP_2)
	v_fma_f64 v[45:46], v[41:42], s[68:69], s[66:67]
	v_mul_f64_e32 v[47:48], v[35:36], v[41:42]
	v_fma_f64 v[45:46], v[41:42], v[45:46], s[70:71]
	s_delay_alu instid0(VALU_DEP_1) | instskip(NEXT) | instid1(VALU_DEP_1)
	v_fma_f64 v[45:46], v[41:42], v[45:46], s[72:73]
	v_fma_f64 v[45:46], v[41:42], v[45:46], s[74:75]
	s_delay_alu instid0(VALU_DEP_1) | instskip(NEXT) | instid1(VALU_DEP_1)
	v_fma_f64 v[45:46], v[41:42], v[45:46], s[76:77]
	v_fma_f64 v[41:42], v[41:42], v[45:46], s[78:79]
	v_ldexp_f64 v[45:46], v[35:36], 1
	v_add_f64_e64 v[35:36], v[35:36], -v[43:44]
	s_delay_alu instid0(VALU_DEP_3) | instskip(SKIP_1) | instid1(VALU_DEP_3)
	v_mul_f64_e32 v[41:42], v[47:48], v[41:42]
	v_subrev_co_ci_u32_e64 v47, null, 0, v49, s1
	v_add_f64_e64 v[33:34], v[33:34], -v[35:36]
	v_cmp_class_f64_e64 s1, v[31:32], 0x204
	s_delay_alu instid0(VALU_DEP_3) | instskip(SKIP_1) | instid1(VALU_DEP_4)
	v_cvt_f64_i32_e32 v[47:48], v47
	v_add_f64_e32 v[43:44], v[45:46], v[41:42]
	v_ldexp_f64 v[33:34], v[33:34], 1
	s_delay_alu instid0(VALU_DEP_3) | instskip(NEXT) | instid1(VALU_DEP_3)
	v_mul_f64_e32 v[49:50], s[80:81], v[47:48]
	v_add_f64_e64 v[35:36], v[43:44], -v[45:46]
	s_delay_alu instid0(VALU_DEP_2) | instskip(NEXT) | instid1(VALU_DEP_2)
	v_fma_f64 v[45:46], v[47:48], s[80:81], -v[49:50]
	v_add_f64_e64 v[35:36], v[41:42], -v[35:36]
	s_delay_alu instid0(VALU_DEP_2) | instskip(NEXT) | instid1(VALU_DEP_2)
	v_fma_f64 v[41:42], v[47:48], s[82:83], v[45:46]
	v_add_f64_e32 v[33:34], v[33:34], v[35:36]
	s_delay_alu instid0(VALU_DEP_2) | instskip(NEXT) | instid1(VALU_DEP_2)
	v_add_f64_e32 v[35:36], v[49:50], v[41:42]
	v_add_f64_e32 v[45:46], v[43:44], v[33:34]
	s_delay_alu instid0(VALU_DEP_2) | instskip(NEXT) | instid1(VALU_DEP_2)
	v_add_f64_e64 v[49:50], v[35:36], -v[49:50]
	v_add_f64_e32 v[47:48], v[35:36], v[45:46]
	v_add_f64_e64 v[43:44], v[45:46], -v[43:44]
	s_delay_alu instid0(VALU_DEP_3) | instskip(NEXT) | instid1(VALU_DEP_3)
	v_add_f64_e64 v[41:42], v[41:42], -v[49:50]
	v_add_f64_e64 v[51:52], v[47:48], -v[35:36]
	s_delay_alu instid0(VALU_DEP_3) | instskip(NEXT) | instid1(VALU_DEP_2)
	v_add_f64_e64 v[33:34], v[33:34], -v[43:44]
	v_add_f64_e64 v[53:54], v[47:48], -v[51:52]
	;; [unrolled: 1-line block ×3, first 2 shown]
	s_delay_alu instid0(VALU_DEP_3) | instskip(SKIP_2) | instid1(VALU_DEP_1)
	v_add_f64_e32 v[49:50], v[41:42], v[33:34]
	global_load_b64 v[45:46], v[21:22], off
	v_add_f64_e64 v[35:36], v[35:36], -v[53:54]
	v_add_f64_e32 v[35:36], v[43:44], v[35:36]
	v_add_f64_e64 v[43:44], v[49:50], -v[41:42]
	s_delay_alu instid0(VALU_DEP_2) | instskip(NEXT) | instid1(VALU_DEP_2)
	v_add_f64_e32 v[35:36], v[49:50], v[35:36]
	v_add_f64_e64 v[49:50], v[49:50], -v[43:44]
	v_add_f64_e64 v[33:34], v[33:34], -v[43:44]
	s_delay_alu instid0(VALU_DEP_3) | instskip(NEXT) | instid1(VALU_DEP_3)
	v_add_f64_e32 v[51:52], v[47:48], v[35:36]
	v_add_f64_e64 v[41:42], v[41:42], -v[49:50]
	s_delay_alu instid0(VALU_DEP_2) | instskip(NEXT) | instid1(VALU_DEP_2)
	v_add_f64_e64 v[43:44], v[51:52], -v[47:48]
	v_add_f64_e32 v[33:34], v[33:34], v[41:42]
	s_delay_alu instid0(VALU_DEP_2) | instskip(NEXT) | instid1(VALU_DEP_1)
	v_add_f64_e64 v[35:36], v[35:36], -v[43:44]
	v_add_f64_e32 v[33:34], v[33:34], v[35:36]
	s_delay_alu instid0(VALU_DEP_1) | instskip(SKIP_1) | instid1(VALU_DEP_1)
	v_add_f64_e32 v[33:34], v[51:52], v[33:34]
	s_wait_alu 0xf1ff
	v_cndmask_b32_e64 v33, v33, v31, s1
	s_delay_alu instid0(VALU_DEP_2) | instskip(SKIP_2) | instid1(VALU_DEP_1)
	v_cndmask_b32_e64 v34, v34, v32, s1
	v_cmp_ngt_f64_e64 s1, 0, v[31:32]
	s_wait_alu 0xf1ff
	v_cndmask_b32_e64 v34, 0x7ff80000, v34, s1
	v_cmp_nge_f64_e64 s1, 0, v[31:32]
	s_wait_alu 0xf1ff
	s_delay_alu instid0(VALU_DEP_1) | instskip(SKIP_2) | instid1(VALU_DEP_1)
	v_cndmask_b32_e64 v33, 0, v33, s1
	v_cmp_neq_f64_e64 s1, 0, v[31:32]
	s_wait_alu 0xf1ff
	v_cndmask_b32_e64 v34, 0xfff00000, v34, s1
	s_delay_alu instid0(VALU_DEP_1) | instskip(SKIP_1) | instid1(VALU_DEP_1)
	v_add_f64_e32 v[31:32], v[37:38], v[33:34]
	s_wait_loadcnt 0x0
	v_add_f64_e32 v[31:32], v[45:46], v[31:32]
.LBB0_43:                               ;   in Loop: Header=BB0_31 Depth=2
	s_or_b32 exec_lo, exec_lo, s90
	s_and_saveexec_b32 s3, s89
	s_cbranch_execz .LBB0_30
; %bb.44:                               ;   in Loop: Header=BB0_31 Depth=2
	v_add_co_u32 v33, s1, v29, v7
	s_wait_alu 0xf1ff
	v_add_co_ci_u32_e64 v34, null, v30, v8, s1
	global_store_b64 v[33:34], v[31:32], off
	s_branch .LBB0_30
.LBB0_45:
	s_mov_b32 s3, exec_lo
	s_wait_loadcnt 0x0
	s_wait_storecnt 0x0
	s_barrier_signal -1
	s_barrier_wait -1
	global_inv scope:SCOPE_SE
	v_cmpx_eq_u32_e32 0, v0
	s_cbranch_execz .LBB0_49
; %bb.46:
	v_add_co_u32 v0, vcc_lo, v5, -1
	s_wait_alu 0xfffd
	v_add_co_ci_u32_e64 v5, null, -1, v6, vcc_lo
	v_mul_lo_u32 v13, v3, s15
	s_delay_alu instid0(VALU_DEP_3) | instskip(SKIP_1) | instid1(VALU_DEP_4)
	v_mul_lo_u32 v12, v0, s13
	v_mad_co_u64_u32 v[9:10], null, v3, s14, 0
	v_mul_lo_u32 v11, v5, s12
	v_mad_co_u64_u32 v[5:6], null, v0, s12, 0
	v_mul_lo_u32 v0, v4, s14
	s_delay_alu instid0(VALU_DEP_2) | instskip(NEXT) | instid1(VALU_DEP_2)
	v_add3_u32 v6, v6, v12, v11
	v_add3_u32 v10, v10, v13, v0
	v_add_co_u32 v0, vcc_lo, s20, v7
	s_delay_alu instid0(VALU_DEP_3) | instskip(SKIP_3) | instid1(VALU_DEP_3)
	v_lshlrev_b64_e32 v[5:6], 3, v[5:6]
	s_wait_alu 0xfffd
	v_add_co_ci_u32_e64 v7, null, s21, v8, vcc_lo
	v_lshlrev_b64_e32 v[11:12], 4, v[9:10]
	v_add_co_u32 v0, vcc_lo, v0, v5
	s_wait_alu 0xfffd
	s_delay_alu instid0(VALU_DEP_3) | instskip(NEXT) | instid1(VALU_DEP_2)
	v_add_co_ci_u32_e64 v7, null, v7, v6, vcc_lo
	v_add_co_u32 v5, vcc_lo, v0, v11
	s_wait_alu 0xfffd
	s_delay_alu instid0(VALU_DEP_2)
	v_add_co_ci_u32_e64 v6, null, v7, v12, vcc_lo
	v_cmp_lt_i64_e32 vcc_lo, 0, v[3:4]
	v_mov_b32_e32 v3, 0
	v_mov_b32_e32 v4, 0xfff00000
	global_load_b64 v[5:6], v[5:6], off
	s_and_saveexec_b32 s0, vcc_lo
	s_cbranch_execz .LBB0_48
; %bb.47:
	v_lshlrev_b64_e32 v[3:4], 1, v[9:10]
	s_delay_alu instid0(VALU_DEP_1) | instskip(SKIP_1) | instid1(VALU_DEP_2)
	v_sub_co_u32 v3, vcc_lo, v3, s14
	s_wait_alu 0xfffd
	v_subrev_co_ci_u32_e64 v4, null, s15, v4, vcc_lo
	s_delay_alu instid0(VALU_DEP_1) | instskip(NEXT) | instid1(VALU_DEP_1)
	v_lshlrev_b64_e32 v[3:4], 3, v[3:4]
	v_add_co_u32 v3, vcc_lo, v0, v3
	s_wait_alu 0xfffd
	s_delay_alu instid0(VALU_DEP_2)
	v_add_co_ci_u32_e64 v4, null, v7, v4, vcc_lo
	global_load_b64 v[3:4], v[3:4], off
.LBB0_48:
	s_wait_alu 0xfffe
	s_or_b32 exec_lo, exec_lo, s0
	s_wait_loadcnt 0x0
	v_cmp_gt_f64_e32 vcc_lo, v[5:6], v[3:4]
	s_mov_b32 s0, 0x652b82fe
	s_mov_b32 s1, 0x3ff71547
	;; [unrolled: 1-line block ×10, first 2 shown]
	s_wait_alu 0xfffd
	v_dual_cndmask_b32 v8, v4, v6 :: v_dual_cndmask_b32 v7, v3, v5
	s_delay_alu instid0(VALU_DEP_1) | instskip(SKIP_2) | instid1(VALU_DEP_1)
	v_cmp_neq_f64_e32 vcc_lo, 0xfff00000, v[7:8]
	s_wait_alu 0xfffd
	v_dual_cndmask_b32 v8, 0, v8 :: v_dual_cndmask_b32 v7, 0, v7
	v_add_f64_e64 v[5:6], v[5:6], -v[7:8]
	v_add_f64_e64 v[3:4], v[3:4], -v[7:8]
	s_wait_alu 0xfffe
	s_delay_alu instid0(VALU_DEP_2) | instskip(NEXT) | instid1(VALU_DEP_2)
	v_mul_f64_e32 v[9:10], s[0:1], v[5:6]
	v_mul_f64_e32 v[11:12], s[0:1], v[3:4]
	s_mov_b32 s0, 0xfca7ab0c
	s_mov_b32 s1, 0x3e928af3
	v_cmp_nlt_f64_e32 vcc_lo, 0x40900000, v[5:6]
	v_cmp_ngt_f64_e64 s2, 0xc090cc00, v[3:4]
	s_delay_alu instid0(VALU_DEP_4) | instskip(NEXT) | instid1(VALU_DEP_4)
	v_rndne_f64_e32 v[9:10], v[9:10]
	v_rndne_f64_e32 v[11:12], v[11:12]
	s_delay_alu instid0(VALU_DEP_2) | instskip(NEXT) | instid1(VALU_DEP_2)
	v_fma_f64 v[13:14], v[9:10], s[6:7], v[5:6]
	v_fma_f64 v[15:16], v[11:12], s[6:7], v[3:4]
	v_cvt_i32_f64_e32 v0, v[9:10]
	s_mov_b32 s7, 0x3fe62e42
	s_delay_alu instid0(VALU_DEP_3) | instskip(NEXT) | instid1(VALU_DEP_3)
	v_fma_f64 v[13:14], v[9:10], s[4:5], v[13:14]
	v_fma_f64 v[15:16], v[11:12], s[4:5], v[15:16]
	s_mov_b32 s5, 0x3c7abc9e
	s_wait_alu 0xfffe
	s_delay_alu instid0(VALU_DEP_2) | instskip(NEXT) | instid1(VALU_DEP_2)
	v_fma_f64 v[17:18], v[13:14], s[8:9], s[0:1]
	v_fma_f64 v[19:20], v[15:16], s[8:9], s[0:1]
	s_mov_b32 s0, 0x623fde64
	s_mov_b32 s1, 0x3ec71dee
	;; [unrolled: 1-line block ×4, first 2 shown]
	s_wait_alu 0xfffe
	s_delay_alu instid0(VALU_DEP_2) | instskip(NEXT) | instid1(VALU_DEP_2)
	v_fma_f64 v[17:18], v[13:14], v[17:18], s[0:1]
	v_fma_f64 v[19:20], v[15:16], v[19:20], s[0:1]
	s_mov_b32 s0, 0x7c89e6b0
	s_mov_b32 s1, 0x3efa0199
	s_wait_alu 0xfffe
	s_delay_alu instid0(VALU_DEP_2) | instskip(NEXT) | instid1(VALU_DEP_2)
	v_fma_f64 v[17:18], v[13:14], v[17:18], s[0:1]
	v_fma_f64 v[19:20], v[15:16], v[19:20], s[0:1]
	s_mov_b32 s0, 0x14761f6e
	s_mov_b32 s1, 0x3f2a01a0
	;; [unrolled: 6-line block ×7, first 2 shown]
	s_wait_alu 0xfffe
	s_delay_alu instid0(VALU_DEP_2) | instskip(NEXT) | instid1(VALU_DEP_2)
	v_fma_f64 v[17:18], v[13:14], v[17:18], s[0:1]
	v_fma_f64 v[19:20], v[15:16], v[19:20], s[0:1]
	v_cmp_nlt_f64_e64 s1, 0x40900000, v[3:4]
	v_cmp_ngt_f64_e64 s0, 0xc090cc00, v[5:6]
	s_delay_alu instid0(VALU_DEP_4) | instskip(NEXT) | instid1(VALU_DEP_4)
	v_fma_f64 v[17:18], v[13:14], v[17:18], 1.0
	v_fma_f64 v[19:20], v[15:16], v[19:20], 1.0
	s_delay_alu instid0(VALU_DEP_2) | instskip(SKIP_1) | instid1(VALU_DEP_3)
	v_fma_f64 v[9:10], v[13:14], v[17:18], 1.0
	v_cvt_i32_f64_e32 v13, v[11:12]
	v_fma_f64 v[11:12], v[15:16], v[19:20], 1.0
	s_delay_alu instid0(VALU_DEP_3) | instskip(NEXT) | instid1(VALU_DEP_2)
	v_ldexp_f64 v[9:10], v[9:10], v0
	v_ldexp_f64 v[11:12], v[11:12], v13
	s_wait_alu 0xfffd
	s_delay_alu instid0(VALU_DEP_2) | instskip(SKIP_1) | instid1(VALU_DEP_2)
	v_cndmask_b32_e32 v0, 0x7ff00000, v10, vcc_lo
	s_and_b32 vcc_lo, s0, vcc_lo
	v_cndmask_b32_e64 v5, 0x7ff00000, v12, s1
	s_wait_alu 0xfffe
	s_delay_alu instid0(VALU_DEP_4)
	v_cndmask_b32_e32 v3, 0, v9, vcc_lo
	s_and_b32 vcc_lo, s2, s1
	v_cndmask_b32_e64 v4, 0, v0, s0
	s_mov_b32 s1, 0x3fe55555
	v_cndmask_b32_e64 v6, 0, v5, s2
	s_wait_alu 0xfffe
	v_cndmask_b32_e32 v5, 0, v11, vcc_lo
	s_mov_b32 s0, 0x55555555
	s_delay_alu instid0(VALU_DEP_1) | instskip(NEXT) | instid1(VALU_DEP_1)
	v_add_f64_e32 v[3:4], v[3:4], v[5:6]
	v_frexp_mant_f64_e32 v[5:6], v[3:4]
	s_wait_alu 0xfffe
	s_delay_alu instid0(VALU_DEP_1) | instskip(SKIP_3) | instid1(VALU_DEP_1)
	v_cmp_gt_f64_e32 vcc_lo, s[0:1], v[5:6]
	s_mov_b32 s0, 0x55555780
	s_wait_alu 0xfffd
	v_cndmask_b32_e64 v0, 0, 1, vcc_lo
	v_ldexp_f64 v[5:6], v[5:6], v0
	v_frexp_exp_i32_f64_e32 v0, v[3:4]
	s_delay_alu instid0(VALU_DEP_2) | instskip(SKIP_1) | instid1(VALU_DEP_3)
	v_add_f64_e32 v[9:10], 1.0, v[5:6]
	v_add_f64_e32 v[15:16], -1.0, v[5:6]
	v_subrev_co_ci_u32_e64 v0, null, 0, v0, vcc_lo
	v_cmp_class_f64_e64 vcc_lo, v[3:4], 0x204
	s_delay_alu instid0(VALU_DEP_4) | instskip(SKIP_1) | instid1(VALU_DEP_1)
	v_rcp_f64_e32 v[11:12], v[9:10]
	v_add_f64_e32 v[17:18], -1.0, v[9:10]
	v_add_f64_e64 v[5:6], v[5:6], -v[17:18]
	s_delay_alu instid0(TRANS32_DEP_1) | instskip(NEXT) | instid1(VALU_DEP_1)
	v_fma_f64 v[13:14], -v[9:10], v[11:12], 1.0
	v_fma_f64 v[11:12], v[13:14], v[11:12], v[11:12]
	s_delay_alu instid0(VALU_DEP_1) | instskip(NEXT) | instid1(VALU_DEP_1)
	v_fma_f64 v[13:14], -v[9:10], v[11:12], 1.0
	v_fma_f64 v[11:12], v[13:14], v[11:12], v[11:12]
	s_delay_alu instid0(VALU_DEP_1) | instskip(NEXT) | instid1(VALU_DEP_1)
	v_mul_f64_e32 v[13:14], v[15:16], v[11:12]
	v_mul_f64_e32 v[19:20], v[9:10], v[13:14]
	s_delay_alu instid0(VALU_DEP_1) | instskip(NEXT) | instid1(VALU_DEP_1)
	v_fma_f64 v[9:10], v[13:14], v[9:10], -v[19:20]
	v_fma_f64 v[5:6], v[13:14], v[5:6], v[9:10]
	s_delay_alu instid0(VALU_DEP_1) | instskip(NEXT) | instid1(VALU_DEP_1)
	v_add_f64_e32 v[9:10], v[19:20], v[5:6]
	v_add_f64_e64 v[17:18], v[15:16], -v[9:10]
	v_add_f64_e64 v[19:20], v[9:10], -v[19:20]
	s_delay_alu instid0(VALU_DEP_2) | instskip(NEXT) | instid1(VALU_DEP_2)
	v_add_f64_e64 v[15:16], v[15:16], -v[17:18]
	v_add_f64_e64 v[5:6], v[19:20], -v[5:6]
	s_delay_alu instid0(VALU_DEP_2) | instskip(NEXT) | instid1(VALU_DEP_1)
	v_add_f64_e64 v[9:10], v[15:16], -v[9:10]
	v_add_f64_e32 v[5:6], v[5:6], v[9:10]
	s_delay_alu instid0(VALU_DEP_1) | instskip(NEXT) | instid1(VALU_DEP_1)
	v_add_f64_e32 v[5:6], v[17:18], v[5:6]
	v_mul_f64_e32 v[5:6], v[11:12], v[5:6]
	s_delay_alu instid0(VALU_DEP_1) | instskip(NEXT) | instid1(VALU_DEP_1)
	v_add_f64_e32 v[9:10], v[13:14], v[5:6]
	v_mul_f64_e32 v[11:12], v[9:10], v[9:10]
	s_delay_alu instid0(VALU_DEP_1) | instskip(SKIP_4) | instid1(VALU_DEP_2)
	v_fma_f64 v[15:16], v[11:12], s[10:11], s[8:9]
	s_mov_b32 s8, 0xd7f4df2e
	s_mov_b32 s9, 0x3fc7474d
	v_mul_f64_e32 v[17:18], v[9:10], v[11:12]
	s_wait_alu 0xfffe
	v_fma_f64 v[15:16], v[11:12], v[15:16], s[8:9]
	s_mov_b32 s8, 0x16291751
	s_mov_b32 s9, 0x3fcc71c0
	s_wait_alu 0xfffe
	s_delay_alu instid0(VALU_DEP_1) | instskip(SKIP_3) | instid1(VALU_DEP_1)
	v_fma_f64 v[15:16], v[11:12], v[15:16], s[8:9]
	s_mov_b32 s8, 0x9b27acf1
	s_mov_b32 s9, 0x3fd24924
	s_wait_alu 0xfffe
	v_fma_f64 v[15:16], v[11:12], v[15:16], s[8:9]
	s_mov_b32 s8, 0x998ef7b6
	s_mov_b32 s9, 0x3fd99999
	s_wait_alu 0xfffe
	s_delay_alu instid0(VALU_DEP_1) | instskip(NEXT) | instid1(VALU_DEP_1)
	v_fma_f64 v[15:16], v[11:12], v[15:16], s[8:9]
	v_fma_f64 v[11:12], v[11:12], v[15:16], s[0:1]
	v_ldexp_f64 v[15:16], v[9:10], 1
	v_add_f64_e64 v[9:10], v[9:10], -v[13:14]
	s_delay_alu instid0(VALU_DEP_3) | instskip(SKIP_1) | instid1(VALU_DEP_3)
	v_mul_f64_e32 v[11:12], v[17:18], v[11:12]
	v_cvt_f64_i32_e32 v[17:18], v0
	v_add_f64_e64 v[5:6], v[5:6], -v[9:10]
	s_delay_alu instid0(VALU_DEP_3) | instskip(NEXT) | instid1(VALU_DEP_3)
	v_add_f64_e32 v[13:14], v[15:16], v[11:12]
	v_mul_f64_e32 v[19:20], s[6:7], v[17:18]
	s_delay_alu instid0(VALU_DEP_3) | instskip(NEXT) | instid1(VALU_DEP_3)
	v_ldexp_f64 v[5:6], v[5:6], 1
	v_add_f64_e64 v[9:10], v[13:14], -v[15:16]
	s_delay_alu instid0(VALU_DEP_3) | instskip(NEXT) | instid1(VALU_DEP_2)
	v_fma_f64 v[15:16], v[17:18], s[6:7], -v[19:20]
	v_add_f64_e64 v[9:10], v[11:12], -v[9:10]
	s_delay_alu instid0(VALU_DEP_2) | instskip(NEXT) | instid1(VALU_DEP_2)
	v_fma_f64 v[11:12], v[17:18], s[4:5], v[15:16]
	v_add_f64_e32 v[5:6], v[5:6], v[9:10]
	s_delay_alu instid0(VALU_DEP_2) | instskip(NEXT) | instid1(VALU_DEP_2)
	v_add_f64_e32 v[9:10], v[19:20], v[11:12]
	v_add_f64_e32 v[15:16], v[13:14], v[5:6]
	s_delay_alu instid0(VALU_DEP_2) | instskip(NEXT) | instid1(VALU_DEP_2)
	v_add_f64_e64 v[19:20], v[9:10], -v[19:20]
	v_add_f64_e32 v[17:18], v[9:10], v[15:16]
	v_add_f64_e64 v[13:14], v[15:16], -v[13:14]
	s_delay_alu instid0(VALU_DEP_3) | instskip(NEXT) | instid1(VALU_DEP_3)
	v_add_f64_e64 v[11:12], v[11:12], -v[19:20]
	v_add_f64_e64 v[21:22], v[17:18], -v[9:10]
	s_delay_alu instid0(VALU_DEP_3) | instskip(NEXT) | instid1(VALU_DEP_2)
	v_add_f64_e64 v[5:6], v[5:6], -v[13:14]
	v_add_f64_e64 v[23:24], v[17:18], -v[21:22]
	;; [unrolled: 1-line block ×3, first 2 shown]
	s_delay_alu instid0(VALU_DEP_3) | instskip(NEXT) | instid1(VALU_DEP_3)
	v_add_f64_e32 v[15:16], v[11:12], v[5:6]
	v_add_f64_e64 v[9:10], v[9:10], -v[23:24]
	s_delay_alu instid0(VALU_DEP_1) | instskip(NEXT) | instid1(VALU_DEP_3)
	v_add_f64_e32 v[9:10], v[13:14], v[9:10]
	v_add_f64_e64 v[13:14], v[15:16], -v[11:12]
	s_delay_alu instid0(VALU_DEP_2) | instskip(NEXT) | instid1(VALU_DEP_2)
	v_add_f64_e32 v[9:10], v[15:16], v[9:10]
	v_add_f64_e64 v[15:16], v[15:16], -v[13:14]
	v_add_f64_e64 v[5:6], v[5:6], -v[13:14]
	s_delay_alu instid0(VALU_DEP_3) | instskip(NEXT) | instid1(VALU_DEP_3)
	v_add_f64_e32 v[19:20], v[17:18], v[9:10]
	v_add_f64_e64 v[11:12], v[11:12], -v[15:16]
	s_delay_alu instid0(VALU_DEP_2) | instskip(NEXT) | instid1(VALU_DEP_2)
	v_add_f64_e64 v[13:14], v[19:20], -v[17:18]
	v_add_f64_e32 v[5:6], v[5:6], v[11:12]
	s_delay_alu instid0(VALU_DEP_2) | instskip(NEXT) | instid1(VALU_DEP_1)
	v_add_f64_e64 v[9:10], v[9:10], -v[13:14]
	v_add_f64_e32 v[5:6], v[5:6], v[9:10]
	s_delay_alu instid0(VALU_DEP_1) | instskip(SKIP_1) | instid1(VALU_DEP_1)
	v_add_f64_e32 v[5:6], v[19:20], v[5:6]
	s_wait_alu 0xfffd
	v_dual_cndmask_b32 v0, v5, v3 :: v_dual_cndmask_b32 v5, v6, v4
	v_cmp_ngt_f64_e32 vcc_lo, 0, v[3:4]
	s_wait_alu 0xfffd
	s_delay_alu instid0(VALU_DEP_2)
	v_cndmask_b32_e32 v6, 0x7ff80000, v5, vcc_lo
	v_cmp_nge_f64_e32 vcc_lo, 0, v[3:4]
	s_wait_alu 0xfffd
	v_cndmask_b32_e32 v5, 0, v0, vcc_lo
	v_cmp_neq_f64_e32 vcc_lo, 0, v[3:4]
	s_wait_alu 0xfffd
	v_cndmask_b32_e32 v6, 0xfff00000, v6, vcc_lo
	v_add_co_u32 v0, vcc_lo, s18, v1
	s_wait_alu 0xfffd
	v_add_co_ci_u32_e64 v1, null, s19, v2, vcc_lo
	s_delay_alu instid0(VALU_DEP_3) | instskip(NEXT) | instid1(VALU_DEP_1)
	v_add_f64_e32 v[3:4], v[7:8], v[5:6]
	v_xor_b32_e32 v4, 0x80000000, v4
	global_store_b64 v[0:1], v[3:4], off
.LBB0_49:
	s_wait_alu 0xfffe
	s_or_b32 exec_lo, exec_lo, s3
                                        ; implicit-def: $vgpr0
                                        ; implicit-def: $vgpr1_vgpr2
                                        ; implicit-def: $vgpr3_vgpr4
.LBB0_50:
	s_and_not1_saveexec_b32 s0, s33
	s_cbranch_execz .LBB0_53
; %bb.51:
	v_and_b32_e32 v0, 0x3ff, v0
	s_delay_alu instid0(VALU_DEP_1)
	v_cmp_eq_u32_e32 vcc_lo, 0, v0
	s_and_b32 exec_lo, exec_lo, vcc_lo
	s_cbranch_execz .LBB0_53
; %bb.52:
	v_add_co_u32 v0, vcc_lo, s18, v1
	s_wait_alu 0xfffd
	v_add_co_ci_u32_e64 v1, null, s19, v2, vcc_lo
	s_wait_loadcnt 0x0
	v_cmp_eq_u64_e32 vcc_lo, 0, v[3:4]
	v_bfrev_b32_e32 v5, 1
	s_wait_alu 0xfffd
	s_delay_alu instid0(VALU_DEP_1)
	v_dual_mov_b32 v2, 0 :: v_dual_cndmask_b32 v3, 0x7ff00000, v5
	global_store_b64 v[0:1], v[2:3], off
.LBB0_53:
	s_endpgm
	.section	.rodata,"a",@progbits
	.p2align	6, 0x0
	.amdhsa_kernel _ZN2at6native12_GLOBAL__N_129ctc_loss_log_alpha_gpu_kernelIdlEEvPT_PKS3_PKllPKT0_S8_lS4_llllllS8_lll
		.amdhsa_group_segment_fixed_size 0
		.amdhsa_private_segment_fixed_size 0
		.amdhsa_kernarg_size 400
		.amdhsa_user_sgpr_count 2
		.amdhsa_user_sgpr_dispatch_ptr 0
		.amdhsa_user_sgpr_queue_ptr 0
		.amdhsa_user_sgpr_kernarg_segment_ptr 1
		.amdhsa_user_sgpr_dispatch_id 0
		.amdhsa_user_sgpr_private_segment_size 0
		.amdhsa_wavefront_size32 1
		.amdhsa_uses_dynamic_stack 0
		.amdhsa_enable_private_segment 0
		.amdhsa_system_sgpr_workgroup_id_x 1
		.amdhsa_system_sgpr_workgroup_id_y 1
		.amdhsa_system_sgpr_workgroup_id_z 0
		.amdhsa_system_sgpr_workgroup_info 0
		.amdhsa_system_vgpr_workitem_id 1
		.amdhsa_next_free_vgpr 60
		.amdhsa_next_free_sgpr 91
		.amdhsa_reserve_vcc 1
		.amdhsa_float_round_mode_32 0
		.amdhsa_float_round_mode_16_64 0
		.amdhsa_float_denorm_mode_32 3
		.amdhsa_float_denorm_mode_16_64 3
		.amdhsa_fp16_overflow 0
		.amdhsa_workgroup_processor_mode 1
		.amdhsa_memory_ordered 1
		.amdhsa_forward_progress 1
		.amdhsa_inst_pref_size 50
		.amdhsa_round_robin_scheduling 0
		.amdhsa_exception_fp_ieee_invalid_op 0
		.amdhsa_exception_fp_denorm_src 0
		.amdhsa_exception_fp_ieee_div_zero 0
		.amdhsa_exception_fp_ieee_overflow 0
		.amdhsa_exception_fp_ieee_underflow 0
		.amdhsa_exception_fp_ieee_inexact 0
		.amdhsa_exception_int_div_zero 0
	.end_amdhsa_kernel
	.section	.text._ZN2at6native12_GLOBAL__N_129ctc_loss_log_alpha_gpu_kernelIdlEEvPT_PKS3_PKllPKT0_S8_lS4_llllllS8_lll,"axG",@progbits,_ZN2at6native12_GLOBAL__N_129ctc_loss_log_alpha_gpu_kernelIdlEEvPT_PKS3_PKllPKT0_S8_lS4_llllllS8_lll,comdat
.Lfunc_end0:
	.size	_ZN2at6native12_GLOBAL__N_129ctc_loss_log_alpha_gpu_kernelIdlEEvPT_PKS3_PKllPKT0_S8_lS4_llllllS8_lll, .Lfunc_end0-_ZN2at6native12_GLOBAL__N_129ctc_loss_log_alpha_gpu_kernelIdlEEvPT_PKS3_PKllPKT0_S8_lS4_llllllS8_lll
                                        ; -- End function
	.set _ZN2at6native12_GLOBAL__N_129ctc_loss_log_alpha_gpu_kernelIdlEEvPT_PKS3_PKllPKT0_S8_lS4_llllllS8_lll.num_vgpr, 60
	.set _ZN2at6native12_GLOBAL__N_129ctc_loss_log_alpha_gpu_kernelIdlEEvPT_PKS3_PKllPKT0_S8_lS4_llllllS8_lll.num_agpr, 0
	.set _ZN2at6native12_GLOBAL__N_129ctc_loss_log_alpha_gpu_kernelIdlEEvPT_PKS3_PKllPKT0_S8_lS4_llllllS8_lll.numbered_sgpr, 91
	.set _ZN2at6native12_GLOBAL__N_129ctc_loss_log_alpha_gpu_kernelIdlEEvPT_PKS3_PKllPKT0_S8_lS4_llllllS8_lll.num_named_barrier, 0
	.set _ZN2at6native12_GLOBAL__N_129ctc_loss_log_alpha_gpu_kernelIdlEEvPT_PKS3_PKllPKT0_S8_lS4_llllllS8_lll.private_seg_size, 0
	.set _ZN2at6native12_GLOBAL__N_129ctc_loss_log_alpha_gpu_kernelIdlEEvPT_PKS3_PKllPKT0_S8_lS4_llllllS8_lll.uses_vcc, 1
	.set _ZN2at6native12_GLOBAL__N_129ctc_loss_log_alpha_gpu_kernelIdlEEvPT_PKS3_PKllPKT0_S8_lS4_llllllS8_lll.uses_flat_scratch, 0
	.set _ZN2at6native12_GLOBAL__N_129ctc_loss_log_alpha_gpu_kernelIdlEEvPT_PKS3_PKllPKT0_S8_lS4_llllllS8_lll.has_dyn_sized_stack, 0
	.set _ZN2at6native12_GLOBAL__N_129ctc_loss_log_alpha_gpu_kernelIdlEEvPT_PKS3_PKllPKT0_S8_lS4_llllllS8_lll.has_recursion, 0
	.set _ZN2at6native12_GLOBAL__N_129ctc_loss_log_alpha_gpu_kernelIdlEEvPT_PKS3_PKllPKT0_S8_lS4_llllllS8_lll.has_indirect_call, 0
	.section	.AMDGPU.csdata,"",@progbits
; Kernel info:
; codeLenInByte = 6332
; TotalNumSgprs: 93
; NumVgprs: 60
; ScratchSize: 0
; MemoryBound: 0
; FloatMode: 240
; IeeeMode: 1
; LDSByteSize: 0 bytes/workgroup (compile time only)
; SGPRBlocks: 0
; VGPRBlocks: 7
; NumSGPRsForWavesPerEU: 93
; NumVGPRsForWavesPerEU: 60
; Occupancy: 16
; WaveLimiterHint : 1
; COMPUTE_PGM_RSRC2:SCRATCH_EN: 0
; COMPUTE_PGM_RSRC2:USER_SGPR: 2
; COMPUTE_PGM_RSRC2:TRAP_HANDLER: 0
; COMPUTE_PGM_RSRC2:TGID_X_EN: 1
; COMPUTE_PGM_RSRC2:TGID_Y_EN: 1
; COMPUTE_PGM_RSRC2:TGID_Z_EN: 0
; COMPUTE_PGM_RSRC2:TIDIG_COMP_CNT: 1
	.section	.text._ZN2at6native12_GLOBAL__N_129ctc_loss_log_alpha_gpu_kernelIdiEEvPT_PKS3_PKllPKT0_S8_lS4_llllllS8_lll,"axG",@progbits,_ZN2at6native12_GLOBAL__N_129ctc_loss_log_alpha_gpu_kernelIdiEEvPT_PKS3_PKllPKT0_S8_lS4_llllllS8_lll,comdat
	.globl	_ZN2at6native12_GLOBAL__N_129ctc_loss_log_alpha_gpu_kernelIdiEEvPT_PKS3_PKllPKT0_S8_lS4_llllllS8_lll ; -- Begin function _ZN2at6native12_GLOBAL__N_129ctc_loss_log_alpha_gpu_kernelIdiEEvPT_PKS3_PKllPKT0_S8_lS4_llllllS8_lll
	.p2align	8
	.type	_ZN2at6native12_GLOBAL__N_129ctc_loss_log_alpha_gpu_kernelIdiEEvPT_PKS3_PKllPKT0_S8_lS4_llllllS8_lll,@function
_ZN2at6native12_GLOBAL__N_129ctc_loss_log_alpha_gpu_kernelIdiEEvPT_PKS3_PKllPKT0_S8_lS4_llllllS8_lll: ; @_ZN2at6native12_GLOBAL__N_129ctc_loss_log_alpha_gpu_kernelIdiEEvPT_PKS3_PKllPKT0_S8_lS4_llllllS8_lll
; %bb.0:
	s_clause 0x1
	s_load_u16 s2, s[0:1], 0x9e
	s_load_b128 s[16:19], s[0:1], 0x78
	v_bfe_u32 v1, v0, 10, 10
	s_wait_kmcnt 0x0
	s_delay_alu instid0(VALU_DEP_1) | instskip(SKIP_2) | instid1(VALU_DEP_1)
	v_mad_co_u64_u32 v[7:8], null, ttmp7, s2, v[1:2]
	v_mov_b32_e32 v8, 0
	s_mov_b32 s2, exec_lo
	v_cmpx_gt_i64_e64 s[18:19], v[7:8]
	s_cbranch_execz .LBB1_53
; %bb.1:
	s_clause 0x1
	s_load_b64 s[2:3], s[0:1], 0x10
	s_load_b64 s[4:5], s[0:1], 0x28
	v_lshlrev_b64_e32 v[1:2], 3, v[7:8]
	s_load_b64 s[18:19], s[0:1], 0x38
	s_wait_kmcnt 0x0
	s_delay_alu instid0(VALU_DEP_1) | instskip(NEXT) | instid1(VALU_DEP_1)
	v_add_co_u32 v3, vcc_lo, s2, v1
	v_add_co_ci_u32_e64 v4, null, s3, v2, vcc_lo
	s_mov_b32 s2, exec_lo
	global_load_b64 v[5:6], v[3:4], off
	v_add_co_u32 v3, vcc_lo, s4, v1
	s_wait_alu 0xfffd
	v_add_co_ci_u32_e64 v4, null, s5, v2, vcc_lo
	global_load_b64 v[3:4], v[3:4], off
	s_wait_loadcnt 0x1
	v_cmpx_ne_u64_e32 0, v[5:6]
	s_wait_alu 0xfffe
	s_xor_b32 s33, exec_lo, s2
	s_cbranch_execz .LBB1_50
; %bb.2:
	s_clause 0x3
	s_load_b64 s[2:3], s[0:1], 0x70
	s_load_b128 s[12:15], s[0:1], 0x60
	s_load_b256 s[4:11], s[0:1], 0x40
	s_load_b64 s[24:25], s[0:1], 0x88
	v_and_b32_e32 v0, 0x3ff, v0
	s_wait_kmcnt 0x0
	v_add_co_u32 v8, vcc_lo, s2, v1
	s_wait_alu 0xfffd
	v_add_co_ci_u32_e64 v9, null, s3, v2, vcc_lo
	v_mad_co_u64_u32 v[13:14], null, s10, v7, 0
	v_mad_co_u64_u32 v[10:11], null, s6, v7, 0
	global_load_b64 v[8:9], v[8:9], off
	s_clause 0x2
	s_load_b64 s[26:27], s[0:1], 0x30
	s_load_b128 s[20:23], s[0:1], 0x0
	s_load_b64 s[34:35], s[0:1], 0x20
	v_mov_b32_e32 v12, v14
	s_delay_alu instid0(VALU_DEP_1)
	v_mad_co_u64_u32 v[14:15], null, s7, v7, v[11:12]
	s_add_nc_u64 s[6:7], s[0:1], 0x90
	v_mov_b32_e32 v11, v14
	v_mad_co_u64_u32 v[15:16], null, s11, v7, v[12:13]
	s_wait_kmcnt 0x0
	v_cmp_gt_i64_e64 s3, s[26:27], -1
	s_lshl_b64 s[10:11], s[26:27], 1
	v_lshlrev_b64_e32 v[19:20], 3, v[10:11]
	v_mov_b32_e32 v14, v15
	s_and_b32 vcc_lo, exec_lo, s3
	s_wait_loadcnt 0x0
	v_lshlrev_b64_e32 v[11:12], 2, v[8:9]
	s_delay_alu instid0(VALU_DEP_2)
	v_lshlrev_b64_e32 v[7:8], 3, v[13:14]
	s_wait_alu 0xfffe
	s_cbranch_vccz .LBB1_17
; %bb.3:
	v_mad_co_u64_u32 v[13:14], null, s14, v0, 0
	s_load_b32 s26, s[6:7], 0xc
	s_mul_u64 s[28:29], s[24:25], s[8:9]
	s_mov_b32 s27, 0
	s_lshl_b64 s[28:29], s[28:29], 3
	v_cmp_ne_u64_e64 s2, 0, v[3:4]
	v_mov_b32_e32 v9, v14
	s_delay_alu instid0(VALU_DEP_1) | instskip(SKIP_4) | instid1(VALU_DEP_4)
	v_mad_co_u64_u32 v[14:15], null, s15, v0, v[9:10]
	v_add_co_u32 v9, vcc_lo, s34, v11
	s_wait_alu 0xfffd
	v_add_co_ci_u32_e64 v10, null, s35, v12, vcc_lo
	v_add_co_u32 v23, vcc_lo, s22, v19
	v_lshlrev_b64_e32 v[15:16], 3, v[13:14]
	s_wait_alu 0xfffd
	v_add_co_ci_u32_e64 v24, null, s23, v20, vcc_lo
	s_delay_alu instid0(VALU_DEP_3)
	v_add_co_u32 v13, vcc_lo, v23, s28
	s_wait_kmcnt 0x0
	s_and_b32 s26, s26, 0xffff
	s_wait_alu 0xfffd
	v_add_co_ci_u32_e64 v14, null, s29, v24, vcc_lo
	v_add_co_u32 v15, vcc_lo, v15, v7
	s_wait_alu 0xfffd
	v_add_co_ci_u32_e64 v16, null, v16, v8, vcc_lo
	s_wait_alu 0xfffe
	s_mul_u64 s[30:31], s[14:15], s[26:27]
	v_add_co_u32 v15, vcc_lo, s20, v15
	s_wait_alu 0xfffd
	v_add_co_ci_u32_e64 v16, null, s21, v16, vcc_lo
	s_mov_b64 s[28:29], 0
	s_lshl_b64 s[30:31], s[30:31], 3
	s_branch .LBB1_5
.LBB1_4:                                ;   in Loop: Header=BB1_5 Depth=1
	s_wait_alu 0xfffe
	s_or_b32 exec_lo, exec_lo, s36
	s_add_nc_u64 s[28:29], s[28:29], s[26:27]
	v_add_co_u32 v15, vcc_lo, v15, s30
	s_wait_alu 0xfffe
	v_cmp_gt_i64_e64 s36, s[28:29], s[10:11]
	s_wait_alu 0xfffd
	v_add_co_ci_u32_e64 v16, null, s31, v16, vcc_lo
	s_and_b32 vcc_lo, exec_lo, s36
	s_wait_alu 0xfffe
	s_cbranch_vccnz .LBB1_17
.LBB1_5:                                ; =>This Inner Loop Header: Depth=1
	s_wait_alu 0xfffe
	v_add_co_u32 v17, s36, v0, s28
	s_wait_alu 0xf1ff
	v_add_co_ci_u32_e64 v18, null, 0, s29, s36
	s_mov_b32 s36, exec_lo
                                        ; implicit-def: $vgpr21_vgpr22
	v_cmpx_lt_i64_e32 0, v[17:18]
	s_wait_alu 0xfffe
	s_xor_b32 s36, exec_lo, s36
	s_cbranch_execnz .LBB1_8
; %bb.6:                                ;   in Loop: Header=BB1_5 Depth=1
	s_wait_alu 0xfffe
	s_and_not1_saveexec_b32 s36, s36
	s_cbranch_execnz .LBB1_13
.LBB1_7:                                ;   in Loop: Header=BB1_5 Depth=1
	s_wait_alu 0xfffe
	s_or_b32 exec_lo, exec_lo, s36
	s_delay_alu instid0(SALU_CYCLE_1)
	s_mov_b32 s36, exec_lo
	v_cmpx_ge_i64_e64 s[10:11], v[17:18]
	s_cbranch_execz .LBB1_4
	s_branch .LBB1_16
.LBB1_8:                                ;   in Loop: Header=BB1_5 Depth=1
	s_wait_loadcnt 0x0
	v_mov_b32_e32 v21, 0
	v_mov_b32_e32 v22, 0xfff00000
	s_mov_b32 s37, exec_lo
	v_cmpx_eq_u64_e32 1, v[17:18]
	s_cbranch_execz .LBB1_12
; %bb.9:                                ;   in Loop: Header=BB1_5 Depth=1
	v_mov_b32_e32 v21, 0
	v_mov_b32_e32 v22, 0xfff00000
	s_and_saveexec_b32 s38, s2
	s_cbranch_execz .LBB1_11
; %bb.10:                               ;   in Loop: Header=BB1_5 Depth=1
	global_load_b32 v21, v[9:10], off
	s_wait_loadcnt 0x0
	v_ashrrev_i32_e32 v25, 31, v21
	v_mul_lo_u32 v26, s9, v21
	v_mad_co_u64_u32 v[21:22], null, s8, v21, 0
	s_delay_alu instid0(VALU_DEP_3) | instskip(NEXT) | instid1(VALU_DEP_1)
	v_mul_lo_u32 v25, s8, v25
	v_add3_u32 v22, v22, v25, v26
	s_delay_alu instid0(VALU_DEP_1) | instskip(NEXT) | instid1(VALU_DEP_1)
	v_lshlrev_b64_e32 v[21:22], 3, v[21:22]
	v_add_co_u32 v21, vcc_lo, v23, v21
	s_wait_alu 0xfffd
	s_delay_alu instid0(VALU_DEP_2)
	v_add_co_ci_u32_e64 v22, null, v24, v22, vcc_lo
	global_load_b64 v[21:22], v[21:22], off
.LBB1_11:                               ;   in Loop: Header=BB1_5 Depth=1
	s_or_b32 exec_lo, exec_lo, s38
.LBB1_12:                               ;   in Loop: Header=BB1_5 Depth=1
	s_wait_alu 0xfffe
	s_or_b32 exec_lo, exec_lo, s37
	s_and_not1_saveexec_b32 s36, s36
	s_cbranch_execz .LBB1_7
.LBB1_13:                               ;   in Loop: Header=BB1_5 Depth=1
	s_wait_loadcnt 0x0
	v_mov_b32_e32 v21, 0
	v_mov_b32_e32 v22, 0xfff00000
	s_mov_b32 s37, exec_lo
	v_cmpx_eq_u64_e32 0, v[17:18]
	s_cbranch_execz .LBB1_15
; %bb.14:                               ;   in Loop: Header=BB1_5 Depth=1
	global_load_b64 v[21:22], v[13:14], off
.LBB1_15:                               ;   in Loop: Header=BB1_5 Depth=1
	s_wait_alu 0xfffe
	s_or_b32 exec_lo, exec_lo, s37
	s_delay_alu instid0(SALU_CYCLE_1) | instskip(NEXT) | instid1(SALU_CYCLE_1)
	s_or_b32 exec_lo, exec_lo, s36
	s_mov_b32 s36, exec_lo
	v_cmpx_ge_i64_e64 s[10:11], v[17:18]
	s_cbranch_execz .LBB1_4
.LBB1_16:                               ;   in Loop: Header=BB1_5 Depth=1
	s_wait_loadcnt 0x0
	global_store_b64 v[15:16], v[21:22], off
	s_branch .LBB1_4
.LBB1_17:
	v_cmp_lt_i64_e64 s2, 0, v[3:4]
	s_and_not1_b32 vcc_lo, exec_lo, s3
	s_wait_alu 0xfffe
	s_cbranch_vccnz .LBB1_45
; %bb.18:
	v_mad_co_u64_u32 v[13:14], null, s14, v0, 0
	s_load_b32 s3, s[6:7], 0xc
	s_load_b64 s[26:27], s[0:1], 0x18
	v_add_co_u32 v16, s0, v0, -2
	v_add_co_u32 v39, vcc_lo, s34, v11
	s_wait_alu 0xf1ff
	v_add_co_ci_u32_e64 v11, null, 0, -1, s0
	v_add_co_u32 v17, s0, v0, -1
	s_wait_alu 0xf1ff
	v_add_co_ci_u32_e64 v18, null, 0, -1, s0
	v_mad_co_u64_u32 v[14:15], null, s15, v0, v[14:15]
	s_wait_alu 0xfffd
	v_add_co_ci_u32_e64 v40, null, s35, v12, vcc_lo
	v_mul_lo_u32 v12, s15, v16
	v_mul_lo_u32 v11, s14, v11
	v_mad_co_u64_u32 v[15:16], null, s14, v16, 0
	s_wait_loadcnt 0x0
	v_mul_lo_u32 v21, s15, v17
	v_mul_lo_u32 v22, s14, v18
	v_mad_co_u64_u32 v[17:18], null, s14, v17, 0
	v_lshlrev_b64_e32 v[13:14], 3, v[13:14]
	s_lshl_b64 s[34:35], s[12:13], 3
	v_add3_u32 v16, v16, v11, v12
	s_wait_alu 0xfffe
	s_add_nc_u64 s[0:1], s[20:21], s[34:35]
	s_lshl_b64 s[38:39], s[4:5], 3
	s_mov_b32 s29, 0
	v_add3_u32 v18, v18, v22, v21
	v_lshlrev_b64_e32 v[15:16], 3, v[15:16]
	s_wait_alu 0xfffe
	v_add_co_u32 v11, vcc_lo, s0, v13
	s_wait_alu 0xfffd
	v_add_co_ci_u32_e64 v12, null, s1, v14, vcc_lo
	v_lshlrev_b64_e32 v[17:18], 3, v[17:18]
	v_add_co_u32 v13, vcc_lo, s20, v13
	s_wait_alu 0xfffd
	v_add_co_ci_u32_e64 v14, null, s21, v14, vcc_lo
	v_add_co_u32 v15, vcc_lo, s20, v15
	s_wait_alu 0xfffd
	v_add_co_ci_u32_e64 v16, null, s21, v16, vcc_lo
	v_add_co_u32 v17, vcc_lo, s20, v17
	s_add_nc_u64 s[0:1], s[22:23], s[38:39]
	s_wait_alu 0xfffd
	v_add_co_ci_u32_e64 v18, null, s21, v18, vcc_lo
	s_wait_alu 0xfffe
	v_add_co_u32 v19, vcc_lo, s0, v19
	v_lshlrev_b64_e32 v[9:10], 1, v[3:4]
	s_wait_kmcnt 0x0
	s_and_b32 s28, s3, 0xffff
	v_cmp_gt_i64_e64 s86, s[26:27], 1
	s_wait_alu 0xfffd
	v_add_co_ci_u32_e64 v20, null, s1, v20, vcc_lo
	s_wait_alu 0xfffe
	s_mul_u64 s[6:7], s[14:15], s[28:29]
	s_mov_b32 s22, 0x652b82fe
	s_mov_b32 s40, 0xfefa39ef
	;; [unrolled: 1-line block ×20, first 2 shown]
	s_mov_b64 s[30:31], 0
	s_wait_alu 0xfffe
	s_lshl_b64 s[36:37], s[6:7], 3
	s_lshl_b64 s[8:9], s[8:9], 3
	s_mov_b32 s23, 0x3ff71547
	s_mov_b32 s41, 0xbfe62e42
	;; [unrolled: 1-line block ×23, first 2 shown]
	s_branch .LBB1_20
.LBB1_19:                               ;   in Loop: Header=BB1_20 Depth=1
	v_add_co_u32 v11, vcc_lo, v11, s36
	s_wait_alu 0xfffd
	v_add_co_ci_u32_e64 v12, null, s37, v12, vcc_lo
	v_add_co_u32 v13, vcc_lo, v13, s36
	s_add_nc_u64 s[30:31], s[30:31], s[28:29]
	s_wait_alu 0xfffd
	v_add_co_ci_u32_e64 v14, null, s37, v14, vcc_lo
	v_add_co_u32 v15, vcc_lo, v15, s36
	s_wait_alu 0xfffe
	v_cmp_gt_i64_e64 s0, s[30:31], s[10:11]
	s_wait_alu 0xfffd
	v_add_co_ci_u32_e64 v16, null, s37, v16, vcc_lo
	v_add_co_u32 v17, vcc_lo, v17, s36
	s_wait_alu 0xfffd
	v_add_co_ci_u32_e64 v18, null, s37, v18, vcc_lo
	s_and_b32 vcc_lo, exec_lo, s0
	s_wait_alu 0xfffe
	s_cbranch_vccnz .LBB1_45
.LBB1_20:                               ; =>This Loop Header: Depth=1
                                        ;     Child Loop BB1_31 Depth 2
	v_add_co_u32 v23, s0, s30, v0
	s_wait_alu 0xf1ff
	v_add_co_ci_u32_e64 v24, null, s31, 0, s0
	v_dual_mov_b32 v26, s25 :: v_dual_mov_b32 v25, s24
	s_mov_b32 s87, 0
	s_delay_alu instid0(VALU_DEP_2)
	v_cmp_le_i64_e64 s1, v[23:24], v[9:10]
	s_and_b32 s0, s2, s1
	s_wait_alu 0xfffe
	s_and_saveexec_b32 s3, s0
	s_cbranch_execz .LBB1_28
; %bb.21:                               ;   in Loop: Header=BB1_20 Depth=1
	v_dual_mov_b32 v26, s25 :: v_dual_and_b32 v21, 1, v23
	v_mov_b32_e32 v25, s24
	s_delay_alu instid0(VALU_DEP_2)
	v_cmp_eq_u32_e32 vcc_lo, 1, v21
	s_and_saveexec_b32 s4, vcc_lo
	s_cbranch_execz .LBB1_23
; %bb.22:                               ;   in Loop: Header=BB1_20 Depth=1
	v_alignbit_b32 v21, v24, v23, 1
	v_lshrrev_b32_e32 v25, 1, v24
	s_delay_alu instid0(VALU_DEP_2) | instskip(SKIP_1) | instid1(VALU_DEP_3)
	v_mul_lo_u32 v26, v21, s17
	v_mad_co_u64_u32 v[21:22], null, v21, s16, 0
	v_mul_lo_u32 v25, v25, s16
	s_delay_alu instid0(VALU_DEP_1) | instskip(NEXT) | instid1(VALU_DEP_1)
	v_add3_u32 v22, v22, v26, v25
	v_lshlrev_b64_e32 v[21:22], 2, v[21:22]
	s_delay_alu instid0(VALU_DEP_1) | instskip(SKIP_1) | instid1(VALU_DEP_2)
	v_add_co_u32 v21, s0, v39, v21
	s_wait_alu 0xf1ff
	v_add_co_ci_u32_e64 v22, null, v40, v22, s0
	global_load_b32 v25, v[21:22], off
	s_wait_loadcnt 0x0
	v_ashrrev_i32_e32 v26, 31, v25
.LBB1_23:                               ;   in Loop: Header=BB1_20 Depth=1
	s_wait_alu 0xfffe
	s_or_b32 exec_lo, exec_lo, s4
	s_mov_b32 s5, 0
	s_mov_b32 s4, exec_lo
	v_cmpx_lt_u64_e32 1, v[23:24]
	s_cbranch_execz .LBB1_27
; %bb.24:                               ;   in Loop: Header=BB1_20 Depth=1
	v_dual_mov_b32 v21, s24 :: v_dual_mov_b32 v22, s25
	s_and_saveexec_b32 s0, vcc_lo
	s_cbranch_execz .LBB1_26
; %bb.25:                               ;   in Loop: Header=BB1_20 Depth=1
	v_add_co_u32 v21, vcc_lo, v23, -2
	s_wait_alu 0xfffd
	v_add_co_ci_u32_e64 v22, null, -1, v24, vcc_lo
	s_delay_alu instid0(VALU_DEP_1) | instskip(NEXT) | instid1(VALU_DEP_1)
	v_lshrrev_b32_e32 v27, 31, v22
	v_add_co_u32 v21, vcc_lo, v21, v27
	s_wait_alu 0xfffd
	v_add_co_ci_u32_e64 v22, null, 0, v22, vcc_lo
	s_delay_alu instid0(VALU_DEP_1) | instskip(NEXT) | instid1(VALU_DEP_1)
	v_ashrrev_i64 v[21:22], 1, v[21:22]
	v_mul_lo_u32 v27, v22, s16
	s_delay_alu instid0(VALU_DEP_2) | instskip(SKIP_1) | instid1(VALU_DEP_1)
	v_mul_lo_u32 v28, v21, s17
	v_mad_co_u64_u32 v[21:22], null, v21, s16, 0
	v_add3_u32 v22, v22, v28, v27
	s_delay_alu instid0(VALU_DEP_1) | instskip(NEXT) | instid1(VALU_DEP_1)
	v_lshlrev_b64_e32 v[21:22], 2, v[21:22]
	v_add_co_u32 v21, vcc_lo, v39, v21
	s_wait_alu 0xfffd
	s_delay_alu instid0(VALU_DEP_2)
	v_add_co_ci_u32_e64 v22, null, v40, v22, vcc_lo
	global_load_b32 v21, v[21:22], off
	s_wait_loadcnt 0x0
	v_ashrrev_i32_e32 v22, 31, v21
.LBB1_26:                               ;   in Loop: Header=BB1_20 Depth=1
	s_wait_alu 0xfffe
	s_or_b32 exec_lo, exec_lo, s0
	s_delay_alu instid0(VALU_DEP_1)
	v_cmp_ne_u64_e32 vcc_lo, v[21:22], v[25:26]
	s_and_b32 s5, vcc_lo, exec_lo
.LBB1_27:                               ;   in Loop: Header=BB1_20 Depth=1
	s_wait_alu 0xfffe
	s_or_b32 exec_lo, exec_lo, s4
	s_delay_alu instid0(SALU_CYCLE_1)
	s_and_b32 s87, s5, exec_lo
.LBB1_28:                               ;   in Loop: Header=BB1_20 Depth=1
	s_wait_alu 0xfffe
	s_or_b32 exec_lo, exec_lo, s3
	s_delay_alu instid0(SALU_CYCLE_1)
	s_and_not1_b32 vcc_lo, exec_lo, s86
	s_wait_alu 0xfffe
	s_cbranch_vccnz .LBB1_19
; %bb.29:                               ;   in Loop: Header=BB1_20 Depth=1
	v_mad_co_u64_u32 v[21:22], null, s8, v25, v[19:20]
	v_mul_lo_u32 v27, s8, v26
	v_mul_lo_u32 v28, s9, v25
	v_cmp_ne_u64_e64 s0, 0, v[23:24]
	v_cmp_ge_i64_e32 vcc_lo, s[10:11], v[23:24]
	v_dual_mov_b32 v24, v18 :: v_dual_mov_b32 v23, v17
	v_dual_mov_b32 v26, v16 :: v_dual_mov_b32 v25, v15
	;; [unrolled: 1-line block ×3, first 2 shown]
	v_add3_u32 v22, v28, v22, v27
	v_dual_mov_b32 v28, v14 :: v_dual_mov_b32 v27, v13
	s_mov_b64 s[84:85], 1
	s_xor_b32 s88, s1, -1
	s_branch .LBB1_31
.LBB1_30:                               ;   in Loop: Header=BB1_31 Depth=2
	s_wait_alu 0xfffe
	s_or_b32 exec_lo, exec_lo, s3
	v_add_co_u32 v29, s1, v29, s34
	s_wait_alu 0xf1ff
	v_add_co_ci_u32_e64 v30, null, s35, v30, s1
	v_add_co_u32 v27, s1, v27, s34
	s_wait_alu 0xf1ff
	v_add_co_ci_u32_e64 v28, null, s35, v28, s1
	v_add_co_u32 v25, s1, v25, s34
	s_wait_alu 0xf1ff
	v_add_co_ci_u32_e64 v26, null, s35, v26, s1
	v_add_co_u32 v23, s1, v23, s34
	s_wait_alu 0xf1ff
	v_add_co_ci_u32_e64 v24, null, s35, v24, s1
	v_add_co_u32 v21, s1, v21, s38
	s_wait_alu 0xf1ff
	v_add_co_ci_u32_e64 v22, null, s39, v22, s1
	s_add_nc_u64 s[84:85], s[84:85], 1
	s_wait_alu 0xfffe
	s_cmp_eq_u64 s[26:27], s[84:85]
	s_cbranch_scc1 .LBB1_19
.LBB1_31:                               ;   Parent Loop BB1_20 Depth=1
                                        ; =>  This Inner Loop Header: Depth=2
	s_wait_alu 0xfffe
	v_cmp_ge_i64_e64 s1, s[84:85], v[5:6]
	s_mov_b32 s89, 0
	s_wait_storecnt 0x0
	s_barrier_signal -1
	s_barrier_wait -1
	global_inv scope:SCOPE_SE
	s_or_b32 s1, s88, s1
	s_wait_alu 0xfffe
	s_and_saveexec_b32 s3, s1
	s_wait_alu 0xfffe
	s_xor_b32 s1, exec_lo, s3
; %bb.32:                               ;   in Loop: Header=BB1_31 Depth=2
	s_and_b32 s89, vcc_lo, exec_lo
; %bb.33:                               ;   in Loop: Header=BB1_31 Depth=2
	s_wait_alu 0xfffe
	s_or_saveexec_b32 s90, s1
	v_mov_b32_e32 v31, 0
	v_mov_b32_e32 v32, 0xfff00000
	s_xor_b32 exec_lo, exec_lo, s90
	s_cbranch_execz .LBB1_43
; %bb.34:                               ;   in Loop: Header=BB1_31 Depth=2
	v_add_co_u32 v31, s1, v27, v7
	s_wait_alu 0xf1ff
	v_add_co_ci_u32_e64 v32, null, v28, v8, s1
	v_mov_b32_e32 v33, 0
	v_mov_b32_e32 v34, 0xfff00000
	global_load_b64 v[35:36], v[31:32], off
	v_mov_b32_e32 v31, 0
	v_mov_b32_e32 v32, 0xfff00000
	s_wait_loadcnt 0x0
	v_dual_mov_b32 v38, v36 :: v_dual_mov_b32 v37, v35
	s_and_saveexec_b32 s3, s0
	s_cbranch_execz .LBB1_38
; %bb.35:                               ;   in Loop: Header=BB1_31 Depth=2
	v_add_co_u32 v33, s1, v23, v7
	s_wait_alu 0xf1ff
	v_add_co_ci_u32_e64 v34, null, v24, v8, s1
	v_dual_mov_b32 v38, v36 :: v_dual_mov_b32 v37, v35
	s_mov_b32 s4, exec_lo
	global_load_b64 v[33:34], v[33:34], off
	s_wait_loadcnt 0x0
	v_cmpx_gt_f64_e32 v[33:34], v[35:36]
; %bb.36:                               ;   in Loop: Header=BB1_31 Depth=2
	v_dual_mov_b32 v38, v34 :: v_dual_mov_b32 v37, v33
; %bb.37:                               ;   in Loop: Header=BB1_31 Depth=2
	s_wait_alu 0xfffe
	s_or_b32 exec_lo, exec_lo, s4
.LBB1_38:                               ;   in Loop: Header=BB1_31 Depth=2
	s_wait_alu 0xfffe
	s_or_b32 exec_lo, exec_lo, s3
	s_and_saveexec_b32 s3, s87
	s_cbranch_execz .LBB1_42
; %bb.39:                               ;   in Loop: Header=BB1_31 Depth=2
	v_add_co_u32 v31, s1, v25, v7
	s_wait_alu 0xf1ff
	v_add_co_ci_u32_e64 v32, null, v26, v8, s1
	s_mov_b32 s4, exec_lo
	global_load_b64 v[31:32], v[31:32], off
	s_wait_loadcnt 0x0
	v_cmpx_gt_f64_e32 v[31:32], v[37:38]
; %bb.40:                               ;   in Loop: Header=BB1_31 Depth=2
	v_dual_mov_b32 v38, v32 :: v_dual_mov_b32 v37, v31
; %bb.41:                               ;   in Loop: Header=BB1_31 Depth=2
	s_wait_alu 0xfffe
	s_or_b32 exec_lo, exec_lo, s4
.LBB1_42:                               ;   in Loop: Header=BB1_31 Depth=2
	s_wait_alu 0xfffe
	s_or_b32 exec_lo, exec_lo, s3
	v_cmp_neq_f64_e64 s1, 0xfff00000, v[37:38]
	s_mov_b32 s79, s65
	s_mov_b32 s80, s40
	;; [unrolled: 1-line block ×3, first 2 shown]
	s_or_b32 s89, s89, exec_lo
	v_cndmask_b32_e64 v38, 0, v38, s1
	v_cndmask_b32_e64 v37, 0, v37, s1
	s_delay_alu instid0(VALU_DEP_1) | instskip(SKIP_2) | instid1(VALU_DEP_3)
	v_add_f64_e64 v[35:36], v[35:36], -v[37:38]
	v_add_f64_e64 v[33:34], v[33:34], -v[37:38]
	;; [unrolled: 1-line block ×3, first 2 shown]
	v_mul_f64_e32 v[41:42], s[22:23], v[35:36]
	s_delay_alu instid0(VALU_DEP_3) | instskip(NEXT) | instid1(VALU_DEP_3)
	v_mul_f64_e32 v[43:44], s[22:23], v[33:34]
	v_mul_f64_e32 v[45:46], s[22:23], v[31:32]
	v_cmp_nlt_f64_e64 s1, 0x40900000, v[35:36]
	v_cmp_nlt_f64_e64 s4, 0x40900000, v[33:34]
	v_cmp_ngt_f64_e64 s3, 0xc090cc00, v[35:36]
	v_cmp_ngt_f64_e64 s5, 0xc090cc00, v[33:34]
	v_cmp_nlt_f64_e64 s6, 0x40900000, v[31:32]
	v_cmp_ngt_f64_e64 s7, 0xc090cc00, v[31:32]
	v_rndne_f64_e32 v[41:42], v[41:42]
	v_rndne_f64_e32 v[43:44], v[43:44]
	v_rndne_f64_e32 v[45:46], v[45:46]
	s_delay_alu instid0(VALU_DEP_3) | instskip(NEXT) | instid1(VALU_DEP_3)
	v_fma_f64 v[47:48], v[41:42], s[40:41], v[35:36]
	v_fma_f64 v[49:50], v[43:44], s[40:41], v[33:34]
	s_delay_alu instid0(VALU_DEP_3) | instskip(SKIP_1) | instid1(VALU_DEP_4)
	v_fma_f64 v[51:52], v[45:46], s[40:41], v[31:32]
	v_cvt_i32_f64_e32 v59, v[41:42]
	v_fma_f64 v[47:48], v[41:42], s[42:43], v[47:48]
	s_delay_alu instid0(VALU_DEP_4) | instskip(NEXT) | instid1(VALU_DEP_4)
	v_fma_f64 v[49:50], v[43:44], s[42:43], v[49:50]
	v_fma_f64 v[51:52], v[45:46], s[42:43], v[51:52]
	s_delay_alu instid0(VALU_DEP_3) | instskip(NEXT) | instid1(VALU_DEP_3)
	v_fma_f64 v[53:54], v[47:48], s[46:47], s[44:45]
	v_fma_f64 v[55:56], v[49:50], s[46:47], s[44:45]
	s_delay_alu instid0(VALU_DEP_3) | instskip(NEXT) | instid1(VALU_DEP_3)
	v_fma_f64 v[57:58], v[51:52], s[46:47], s[44:45]
	v_fma_f64 v[53:54], v[47:48], v[53:54], s[48:49]
	s_delay_alu instid0(VALU_DEP_3) | instskip(NEXT) | instid1(VALU_DEP_3)
	v_fma_f64 v[55:56], v[49:50], v[55:56], s[48:49]
	v_fma_f64 v[57:58], v[51:52], v[57:58], s[48:49]
	s_delay_alu instid0(VALU_DEP_3) | instskip(NEXT) | instid1(VALU_DEP_3)
	v_fma_f64 v[53:54], v[47:48], v[53:54], s[50:51]
	v_fma_f64 v[55:56], v[49:50], v[55:56], s[50:51]
	s_delay_alu instid0(VALU_DEP_3) | instskip(NEXT) | instid1(VALU_DEP_3)
	v_fma_f64 v[57:58], v[51:52], v[57:58], s[50:51]
	v_fma_f64 v[53:54], v[47:48], v[53:54], s[52:53]
	s_delay_alu instid0(VALU_DEP_3) | instskip(NEXT) | instid1(VALU_DEP_3)
	v_fma_f64 v[55:56], v[49:50], v[55:56], s[52:53]
	v_fma_f64 v[57:58], v[51:52], v[57:58], s[52:53]
	s_delay_alu instid0(VALU_DEP_3) | instskip(NEXT) | instid1(VALU_DEP_3)
	v_fma_f64 v[53:54], v[47:48], v[53:54], s[54:55]
	v_fma_f64 v[55:56], v[49:50], v[55:56], s[54:55]
	s_delay_alu instid0(VALU_DEP_3) | instskip(NEXT) | instid1(VALU_DEP_3)
	v_fma_f64 v[57:58], v[51:52], v[57:58], s[54:55]
	v_fma_f64 v[53:54], v[47:48], v[53:54], s[56:57]
	s_delay_alu instid0(VALU_DEP_3) | instskip(NEXT) | instid1(VALU_DEP_3)
	v_fma_f64 v[55:56], v[49:50], v[55:56], s[56:57]
	v_fma_f64 v[57:58], v[51:52], v[57:58], s[56:57]
	s_delay_alu instid0(VALU_DEP_3) | instskip(NEXT) | instid1(VALU_DEP_3)
	v_fma_f64 v[53:54], v[47:48], v[53:54], s[58:59]
	v_fma_f64 v[55:56], v[49:50], v[55:56], s[58:59]
	s_delay_alu instid0(VALU_DEP_3) | instskip(NEXT) | instid1(VALU_DEP_3)
	v_fma_f64 v[57:58], v[51:52], v[57:58], s[58:59]
	v_fma_f64 v[53:54], v[47:48], v[53:54], s[60:61]
	s_delay_alu instid0(VALU_DEP_3) | instskip(NEXT) | instid1(VALU_DEP_3)
	v_fma_f64 v[55:56], v[49:50], v[55:56], s[60:61]
	v_fma_f64 v[57:58], v[51:52], v[57:58], s[60:61]
	s_delay_alu instid0(VALU_DEP_3) | instskip(NEXT) | instid1(VALU_DEP_3)
	v_fma_f64 v[53:54], v[47:48], v[53:54], s[62:63]
	v_fma_f64 v[55:56], v[49:50], v[55:56], s[62:63]
	s_delay_alu instid0(VALU_DEP_3) | instskip(NEXT) | instid1(VALU_DEP_3)
	v_fma_f64 v[57:58], v[51:52], v[57:58], s[62:63]
	v_fma_f64 v[53:54], v[47:48], v[53:54], 1.0
	s_delay_alu instid0(VALU_DEP_3) | instskip(NEXT) | instid1(VALU_DEP_3)
	v_fma_f64 v[55:56], v[49:50], v[55:56], 1.0
	v_fma_f64 v[57:58], v[51:52], v[57:58], 1.0
	s_delay_alu instid0(VALU_DEP_3) | instskip(SKIP_1) | instid1(VALU_DEP_4)
	v_fma_f64 v[41:42], v[47:48], v[53:54], 1.0
	v_cvt_i32_f64_e32 v47, v[43:44]
	v_fma_f64 v[43:44], v[49:50], v[55:56], 1.0
	v_cvt_i32_f64_e32 v48, v[45:46]
	v_fma_f64 v[45:46], v[51:52], v[57:58], 1.0
	v_ldexp_f64 v[41:42], v[41:42], v59
	s_delay_alu instid0(VALU_DEP_4) | instskip(NEXT) | instid1(VALU_DEP_3)
	v_ldexp_f64 v[43:44], v[43:44], v47
	v_ldexp_f64 v[45:46], v[45:46], v48
	s_wait_alu 0xf1ff
	s_delay_alu instid0(VALU_DEP_3) | instskip(SKIP_1) | instid1(VALU_DEP_3)
	v_cndmask_b32_e64 v42, 0x7ff00000, v42, s1
	s_and_b32 s1, s3, s1
	v_cndmask_b32_e64 v35, 0x7ff00000, v44, s4
	s_wait_alu 0xfffe
	v_cndmask_b32_e64 v31, 0, v41, s1
	s_and_b32 s1, s5, s4
	v_cndmask_b32_e64 v32, 0, v42, s3
	s_wait_alu 0xfffe
	v_cndmask_b32_e64 v33, 0, v43, s1
	v_cndmask_b32_e64 v34, 0, v35, s5
	;; [unrolled: 1-line block ×3, first 2 shown]
	s_and_b32 s1, s7, s6
	s_delay_alu instid0(VALU_DEP_2) | instskip(NEXT) | instid1(VALU_DEP_2)
	v_add_f64_e32 v[31:32], v[31:32], v[33:34]
	v_cndmask_b32_e64 v34, 0, v36, s7
	s_wait_alu 0xfffe
	v_cndmask_b32_e64 v33, 0, v45, s1
	s_delay_alu instid0(VALU_DEP_1) | instskip(NEXT) | instid1(VALU_DEP_1)
	v_add_f64_e32 v[31:32], v[33:34], v[31:32]
	v_frexp_mant_f64_e32 v[33:34], v[31:32]
	s_delay_alu instid0(VALU_DEP_1) | instskip(SKIP_1) | instid1(VALU_DEP_1)
	v_cmp_gt_f64_e64 s1, s[64:65], v[33:34]
	s_wait_alu 0xf1ff
	v_cndmask_b32_e64 v35, 0, 1, s1
	s_delay_alu instid0(VALU_DEP_1) | instskip(NEXT) | instid1(VALU_DEP_1)
	v_ldexp_f64 v[33:34], v[33:34], v35
	v_add_f64_e32 v[35:36], 1.0, v[33:34]
	v_add_f64_e32 v[45:46], -1.0, v[33:34]
	s_delay_alu instid0(VALU_DEP_2) | instskip(SKIP_1) | instid1(VALU_DEP_1)
	v_rcp_f64_e32 v[41:42], v[35:36]
	v_add_f64_e32 v[47:48], -1.0, v[35:36]
	v_add_f64_e64 v[33:34], v[33:34], -v[47:48]
	s_delay_alu instid0(TRANS32_DEP_1) | instskip(NEXT) | instid1(VALU_DEP_1)
	v_fma_f64 v[43:44], -v[35:36], v[41:42], 1.0
	v_fma_f64 v[41:42], v[43:44], v[41:42], v[41:42]
	s_delay_alu instid0(VALU_DEP_1) | instskip(NEXT) | instid1(VALU_DEP_1)
	v_fma_f64 v[43:44], -v[35:36], v[41:42], 1.0
	v_fma_f64 v[41:42], v[43:44], v[41:42], v[41:42]
	s_delay_alu instid0(VALU_DEP_1) | instskip(NEXT) | instid1(VALU_DEP_1)
	v_mul_f64_e32 v[43:44], v[45:46], v[41:42]
	v_mul_f64_e32 v[49:50], v[35:36], v[43:44]
	s_delay_alu instid0(VALU_DEP_1) | instskip(NEXT) | instid1(VALU_DEP_1)
	v_fma_f64 v[35:36], v[43:44], v[35:36], -v[49:50]
	v_fma_f64 v[33:34], v[43:44], v[33:34], v[35:36]
	s_delay_alu instid0(VALU_DEP_1) | instskip(NEXT) | instid1(VALU_DEP_1)
	v_add_f64_e32 v[35:36], v[49:50], v[33:34]
	v_add_f64_e64 v[47:48], v[45:46], -v[35:36]
	v_add_f64_e64 v[49:50], v[35:36], -v[49:50]
	s_delay_alu instid0(VALU_DEP_2) | instskip(NEXT) | instid1(VALU_DEP_2)
	v_add_f64_e64 v[45:46], v[45:46], -v[47:48]
	v_add_f64_e64 v[33:34], v[49:50], -v[33:34]
	v_frexp_exp_i32_f64_e32 v49, v[31:32]
	s_delay_alu instid0(VALU_DEP_3) | instskip(NEXT) | instid1(VALU_DEP_1)
	v_add_f64_e64 v[35:36], v[45:46], -v[35:36]
	v_add_f64_e32 v[33:34], v[33:34], v[35:36]
	s_delay_alu instid0(VALU_DEP_1) | instskip(NEXT) | instid1(VALU_DEP_1)
	v_add_f64_e32 v[33:34], v[47:48], v[33:34]
	v_mul_f64_e32 v[33:34], v[41:42], v[33:34]
	s_delay_alu instid0(VALU_DEP_1) | instskip(NEXT) | instid1(VALU_DEP_1)
	v_add_f64_e32 v[35:36], v[43:44], v[33:34]
	v_mul_f64_e32 v[41:42], v[35:36], v[35:36]
	s_delay_alu instid0(VALU_DEP_1) | instskip(SKIP_1) | instid1(VALU_DEP_2)
	v_fma_f64 v[45:46], v[41:42], s[68:69], s[66:67]
	v_mul_f64_e32 v[47:48], v[35:36], v[41:42]
	v_fma_f64 v[45:46], v[41:42], v[45:46], s[70:71]
	s_delay_alu instid0(VALU_DEP_1) | instskip(NEXT) | instid1(VALU_DEP_1)
	v_fma_f64 v[45:46], v[41:42], v[45:46], s[72:73]
	v_fma_f64 v[45:46], v[41:42], v[45:46], s[74:75]
	s_delay_alu instid0(VALU_DEP_1) | instskip(NEXT) | instid1(VALU_DEP_1)
	v_fma_f64 v[45:46], v[41:42], v[45:46], s[76:77]
	v_fma_f64 v[41:42], v[41:42], v[45:46], s[78:79]
	v_ldexp_f64 v[45:46], v[35:36], 1
	v_add_f64_e64 v[35:36], v[35:36], -v[43:44]
	s_delay_alu instid0(VALU_DEP_3) | instskip(SKIP_1) | instid1(VALU_DEP_3)
	v_mul_f64_e32 v[41:42], v[47:48], v[41:42]
	v_subrev_co_ci_u32_e64 v47, null, 0, v49, s1
	v_add_f64_e64 v[33:34], v[33:34], -v[35:36]
	v_cmp_class_f64_e64 s1, v[31:32], 0x204
	s_delay_alu instid0(VALU_DEP_3) | instskip(SKIP_1) | instid1(VALU_DEP_4)
	v_cvt_f64_i32_e32 v[47:48], v47
	v_add_f64_e32 v[43:44], v[45:46], v[41:42]
	v_ldexp_f64 v[33:34], v[33:34], 1
	s_delay_alu instid0(VALU_DEP_3) | instskip(NEXT) | instid1(VALU_DEP_3)
	v_mul_f64_e32 v[49:50], s[80:81], v[47:48]
	v_add_f64_e64 v[35:36], v[43:44], -v[45:46]
	s_delay_alu instid0(VALU_DEP_2) | instskip(NEXT) | instid1(VALU_DEP_2)
	v_fma_f64 v[45:46], v[47:48], s[80:81], -v[49:50]
	v_add_f64_e64 v[35:36], v[41:42], -v[35:36]
	s_delay_alu instid0(VALU_DEP_2) | instskip(NEXT) | instid1(VALU_DEP_2)
	v_fma_f64 v[41:42], v[47:48], s[82:83], v[45:46]
	v_add_f64_e32 v[33:34], v[33:34], v[35:36]
	s_delay_alu instid0(VALU_DEP_2) | instskip(NEXT) | instid1(VALU_DEP_2)
	v_add_f64_e32 v[35:36], v[49:50], v[41:42]
	v_add_f64_e32 v[45:46], v[43:44], v[33:34]
	s_delay_alu instid0(VALU_DEP_2) | instskip(NEXT) | instid1(VALU_DEP_2)
	v_add_f64_e64 v[49:50], v[35:36], -v[49:50]
	v_add_f64_e32 v[47:48], v[35:36], v[45:46]
	v_add_f64_e64 v[43:44], v[45:46], -v[43:44]
	s_delay_alu instid0(VALU_DEP_3) | instskip(NEXT) | instid1(VALU_DEP_3)
	v_add_f64_e64 v[41:42], v[41:42], -v[49:50]
	v_add_f64_e64 v[51:52], v[47:48], -v[35:36]
	s_delay_alu instid0(VALU_DEP_3) | instskip(NEXT) | instid1(VALU_DEP_2)
	v_add_f64_e64 v[33:34], v[33:34], -v[43:44]
	v_add_f64_e64 v[53:54], v[47:48], -v[51:52]
	;; [unrolled: 1-line block ×3, first 2 shown]
	s_delay_alu instid0(VALU_DEP_3) | instskip(SKIP_2) | instid1(VALU_DEP_1)
	v_add_f64_e32 v[49:50], v[41:42], v[33:34]
	global_load_b64 v[45:46], v[21:22], off
	v_add_f64_e64 v[35:36], v[35:36], -v[53:54]
	v_add_f64_e32 v[35:36], v[43:44], v[35:36]
	v_add_f64_e64 v[43:44], v[49:50], -v[41:42]
	s_delay_alu instid0(VALU_DEP_2) | instskip(NEXT) | instid1(VALU_DEP_2)
	v_add_f64_e32 v[35:36], v[49:50], v[35:36]
	v_add_f64_e64 v[49:50], v[49:50], -v[43:44]
	v_add_f64_e64 v[33:34], v[33:34], -v[43:44]
	s_delay_alu instid0(VALU_DEP_3) | instskip(NEXT) | instid1(VALU_DEP_3)
	v_add_f64_e32 v[51:52], v[47:48], v[35:36]
	v_add_f64_e64 v[41:42], v[41:42], -v[49:50]
	s_delay_alu instid0(VALU_DEP_2) | instskip(NEXT) | instid1(VALU_DEP_2)
	v_add_f64_e64 v[43:44], v[51:52], -v[47:48]
	v_add_f64_e32 v[33:34], v[33:34], v[41:42]
	s_delay_alu instid0(VALU_DEP_2) | instskip(NEXT) | instid1(VALU_DEP_1)
	v_add_f64_e64 v[35:36], v[35:36], -v[43:44]
	v_add_f64_e32 v[33:34], v[33:34], v[35:36]
	s_delay_alu instid0(VALU_DEP_1) | instskip(SKIP_1) | instid1(VALU_DEP_1)
	v_add_f64_e32 v[33:34], v[51:52], v[33:34]
	s_wait_alu 0xf1ff
	v_cndmask_b32_e64 v33, v33, v31, s1
	s_delay_alu instid0(VALU_DEP_2) | instskip(SKIP_2) | instid1(VALU_DEP_1)
	v_cndmask_b32_e64 v34, v34, v32, s1
	v_cmp_ngt_f64_e64 s1, 0, v[31:32]
	s_wait_alu 0xf1ff
	v_cndmask_b32_e64 v34, 0x7ff80000, v34, s1
	v_cmp_nge_f64_e64 s1, 0, v[31:32]
	s_wait_alu 0xf1ff
	s_delay_alu instid0(VALU_DEP_1) | instskip(SKIP_2) | instid1(VALU_DEP_1)
	v_cndmask_b32_e64 v33, 0, v33, s1
	v_cmp_neq_f64_e64 s1, 0, v[31:32]
	s_wait_alu 0xf1ff
	v_cndmask_b32_e64 v34, 0xfff00000, v34, s1
	s_delay_alu instid0(VALU_DEP_1) | instskip(SKIP_1) | instid1(VALU_DEP_1)
	v_add_f64_e32 v[31:32], v[37:38], v[33:34]
	s_wait_loadcnt 0x0
	v_add_f64_e32 v[31:32], v[45:46], v[31:32]
.LBB1_43:                               ;   in Loop: Header=BB1_31 Depth=2
	s_or_b32 exec_lo, exec_lo, s90
	s_and_saveexec_b32 s3, s89
	s_cbranch_execz .LBB1_30
; %bb.44:                               ;   in Loop: Header=BB1_31 Depth=2
	v_add_co_u32 v33, s1, v29, v7
	s_wait_alu 0xf1ff
	v_add_co_ci_u32_e64 v34, null, v30, v8, s1
	global_store_b64 v[33:34], v[31:32], off
	s_branch .LBB1_30
.LBB1_45:
	s_mov_b32 s3, exec_lo
	s_wait_loadcnt 0x0
	s_wait_storecnt 0x0
	s_barrier_signal -1
	s_barrier_wait -1
	global_inv scope:SCOPE_SE
	v_cmpx_eq_u32_e32 0, v0
	s_cbranch_execz .LBB1_49
; %bb.46:
	v_add_co_u32 v0, vcc_lo, v5, -1
	s_wait_alu 0xfffd
	v_add_co_ci_u32_e64 v5, null, -1, v6, vcc_lo
	v_mul_lo_u32 v13, v3, s15
	s_delay_alu instid0(VALU_DEP_3) | instskip(SKIP_1) | instid1(VALU_DEP_4)
	v_mul_lo_u32 v12, v0, s13
	v_mad_co_u64_u32 v[9:10], null, v3, s14, 0
	v_mul_lo_u32 v11, v5, s12
	v_mad_co_u64_u32 v[5:6], null, v0, s12, 0
	v_mul_lo_u32 v0, v4, s14
	s_delay_alu instid0(VALU_DEP_2) | instskip(NEXT) | instid1(VALU_DEP_2)
	v_add3_u32 v6, v6, v12, v11
	v_add3_u32 v10, v10, v13, v0
	v_add_co_u32 v0, vcc_lo, s20, v7
	s_delay_alu instid0(VALU_DEP_3) | instskip(SKIP_3) | instid1(VALU_DEP_3)
	v_lshlrev_b64_e32 v[5:6], 3, v[5:6]
	s_wait_alu 0xfffd
	v_add_co_ci_u32_e64 v7, null, s21, v8, vcc_lo
	v_lshlrev_b64_e32 v[11:12], 4, v[9:10]
	v_add_co_u32 v0, vcc_lo, v0, v5
	s_wait_alu 0xfffd
	s_delay_alu instid0(VALU_DEP_3) | instskip(NEXT) | instid1(VALU_DEP_2)
	v_add_co_ci_u32_e64 v7, null, v7, v6, vcc_lo
	v_add_co_u32 v5, vcc_lo, v0, v11
	s_wait_alu 0xfffd
	s_delay_alu instid0(VALU_DEP_2)
	v_add_co_ci_u32_e64 v6, null, v7, v12, vcc_lo
	v_cmp_lt_i64_e32 vcc_lo, 0, v[3:4]
	v_mov_b32_e32 v3, 0
	v_mov_b32_e32 v4, 0xfff00000
	global_load_b64 v[5:6], v[5:6], off
	s_and_saveexec_b32 s0, vcc_lo
	s_cbranch_execz .LBB1_48
; %bb.47:
	v_lshlrev_b64_e32 v[3:4], 1, v[9:10]
	s_delay_alu instid0(VALU_DEP_1) | instskip(SKIP_1) | instid1(VALU_DEP_2)
	v_sub_co_u32 v3, vcc_lo, v3, s14
	s_wait_alu 0xfffd
	v_subrev_co_ci_u32_e64 v4, null, s15, v4, vcc_lo
	s_delay_alu instid0(VALU_DEP_1) | instskip(NEXT) | instid1(VALU_DEP_1)
	v_lshlrev_b64_e32 v[3:4], 3, v[3:4]
	v_add_co_u32 v3, vcc_lo, v0, v3
	s_wait_alu 0xfffd
	s_delay_alu instid0(VALU_DEP_2)
	v_add_co_ci_u32_e64 v4, null, v7, v4, vcc_lo
	global_load_b64 v[3:4], v[3:4], off
.LBB1_48:
	s_wait_alu 0xfffe
	s_or_b32 exec_lo, exec_lo, s0
	s_wait_loadcnt 0x0
	v_cmp_gt_f64_e32 vcc_lo, v[5:6], v[3:4]
	s_mov_b32 s0, 0x652b82fe
	s_mov_b32 s1, 0x3ff71547
	;; [unrolled: 1-line block ×10, first 2 shown]
	s_wait_alu 0xfffd
	v_dual_cndmask_b32 v8, v4, v6 :: v_dual_cndmask_b32 v7, v3, v5
	s_delay_alu instid0(VALU_DEP_1) | instskip(SKIP_2) | instid1(VALU_DEP_1)
	v_cmp_neq_f64_e32 vcc_lo, 0xfff00000, v[7:8]
	s_wait_alu 0xfffd
	v_dual_cndmask_b32 v8, 0, v8 :: v_dual_cndmask_b32 v7, 0, v7
	v_add_f64_e64 v[5:6], v[5:6], -v[7:8]
	v_add_f64_e64 v[3:4], v[3:4], -v[7:8]
	s_wait_alu 0xfffe
	s_delay_alu instid0(VALU_DEP_2) | instskip(NEXT) | instid1(VALU_DEP_2)
	v_mul_f64_e32 v[9:10], s[0:1], v[5:6]
	v_mul_f64_e32 v[11:12], s[0:1], v[3:4]
	s_mov_b32 s0, 0xfca7ab0c
	s_mov_b32 s1, 0x3e928af3
	v_cmp_nlt_f64_e32 vcc_lo, 0x40900000, v[5:6]
	v_cmp_ngt_f64_e64 s2, 0xc090cc00, v[3:4]
	s_delay_alu instid0(VALU_DEP_4) | instskip(NEXT) | instid1(VALU_DEP_4)
	v_rndne_f64_e32 v[9:10], v[9:10]
	v_rndne_f64_e32 v[11:12], v[11:12]
	s_delay_alu instid0(VALU_DEP_2) | instskip(NEXT) | instid1(VALU_DEP_2)
	v_fma_f64 v[13:14], v[9:10], s[6:7], v[5:6]
	v_fma_f64 v[15:16], v[11:12], s[6:7], v[3:4]
	v_cvt_i32_f64_e32 v0, v[9:10]
	s_mov_b32 s7, 0x3fe62e42
	s_delay_alu instid0(VALU_DEP_3) | instskip(NEXT) | instid1(VALU_DEP_3)
	v_fma_f64 v[13:14], v[9:10], s[4:5], v[13:14]
	v_fma_f64 v[15:16], v[11:12], s[4:5], v[15:16]
	s_mov_b32 s5, 0x3c7abc9e
	s_wait_alu 0xfffe
	s_delay_alu instid0(VALU_DEP_2) | instskip(NEXT) | instid1(VALU_DEP_2)
	v_fma_f64 v[17:18], v[13:14], s[8:9], s[0:1]
	v_fma_f64 v[19:20], v[15:16], s[8:9], s[0:1]
	s_mov_b32 s0, 0x623fde64
	s_mov_b32 s1, 0x3ec71dee
	s_mov_b32 s8, 0x6b47b09a
	s_mov_b32 s9, 0x3fc38538
	s_wait_alu 0xfffe
	s_delay_alu instid0(VALU_DEP_2) | instskip(NEXT) | instid1(VALU_DEP_2)
	v_fma_f64 v[17:18], v[13:14], v[17:18], s[0:1]
	v_fma_f64 v[19:20], v[15:16], v[19:20], s[0:1]
	s_mov_b32 s0, 0x7c89e6b0
	s_mov_b32 s1, 0x3efa0199
	s_wait_alu 0xfffe
	s_delay_alu instid0(VALU_DEP_2) | instskip(NEXT) | instid1(VALU_DEP_2)
	v_fma_f64 v[17:18], v[13:14], v[17:18], s[0:1]
	v_fma_f64 v[19:20], v[15:16], v[19:20], s[0:1]
	s_mov_b32 s0, 0x14761f6e
	s_mov_b32 s1, 0x3f2a01a0
	;; [unrolled: 6-line block ×7, first 2 shown]
	s_wait_alu 0xfffe
	s_delay_alu instid0(VALU_DEP_2) | instskip(NEXT) | instid1(VALU_DEP_2)
	v_fma_f64 v[17:18], v[13:14], v[17:18], s[0:1]
	v_fma_f64 v[19:20], v[15:16], v[19:20], s[0:1]
	v_cmp_nlt_f64_e64 s1, 0x40900000, v[3:4]
	v_cmp_ngt_f64_e64 s0, 0xc090cc00, v[5:6]
	s_delay_alu instid0(VALU_DEP_4) | instskip(NEXT) | instid1(VALU_DEP_4)
	v_fma_f64 v[17:18], v[13:14], v[17:18], 1.0
	v_fma_f64 v[19:20], v[15:16], v[19:20], 1.0
	s_delay_alu instid0(VALU_DEP_2) | instskip(SKIP_1) | instid1(VALU_DEP_3)
	v_fma_f64 v[9:10], v[13:14], v[17:18], 1.0
	v_cvt_i32_f64_e32 v13, v[11:12]
	v_fma_f64 v[11:12], v[15:16], v[19:20], 1.0
	s_delay_alu instid0(VALU_DEP_3) | instskip(NEXT) | instid1(VALU_DEP_2)
	v_ldexp_f64 v[9:10], v[9:10], v0
	v_ldexp_f64 v[11:12], v[11:12], v13
	s_wait_alu 0xfffd
	s_delay_alu instid0(VALU_DEP_2) | instskip(SKIP_1) | instid1(VALU_DEP_2)
	v_cndmask_b32_e32 v0, 0x7ff00000, v10, vcc_lo
	s_and_b32 vcc_lo, s0, vcc_lo
	v_cndmask_b32_e64 v5, 0x7ff00000, v12, s1
	s_wait_alu 0xfffe
	s_delay_alu instid0(VALU_DEP_4)
	v_cndmask_b32_e32 v3, 0, v9, vcc_lo
	s_and_b32 vcc_lo, s2, s1
	v_cndmask_b32_e64 v4, 0, v0, s0
	s_mov_b32 s1, 0x3fe55555
	v_cndmask_b32_e64 v6, 0, v5, s2
	s_wait_alu 0xfffe
	v_cndmask_b32_e32 v5, 0, v11, vcc_lo
	s_mov_b32 s0, 0x55555555
	s_delay_alu instid0(VALU_DEP_1) | instskip(NEXT) | instid1(VALU_DEP_1)
	v_add_f64_e32 v[3:4], v[3:4], v[5:6]
	v_frexp_mant_f64_e32 v[5:6], v[3:4]
	s_wait_alu 0xfffe
	s_delay_alu instid0(VALU_DEP_1) | instskip(SKIP_3) | instid1(VALU_DEP_1)
	v_cmp_gt_f64_e32 vcc_lo, s[0:1], v[5:6]
	s_mov_b32 s0, 0x55555780
	s_wait_alu 0xfffd
	v_cndmask_b32_e64 v0, 0, 1, vcc_lo
	v_ldexp_f64 v[5:6], v[5:6], v0
	v_frexp_exp_i32_f64_e32 v0, v[3:4]
	s_delay_alu instid0(VALU_DEP_2) | instskip(SKIP_1) | instid1(VALU_DEP_3)
	v_add_f64_e32 v[9:10], 1.0, v[5:6]
	v_add_f64_e32 v[15:16], -1.0, v[5:6]
	v_subrev_co_ci_u32_e64 v0, null, 0, v0, vcc_lo
	v_cmp_class_f64_e64 vcc_lo, v[3:4], 0x204
	s_delay_alu instid0(VALU_DEP_4) | instskip(SKIP_1) | instid1(VALU_DEP_1)
	v_rcp_f64_e32 v[11:12], v[9:10]
	v_add_f64_e32 v[17:18], -1.0, v[9:10]
	v_add_f64_e64 v[5:6], v[5:6], -v[17:18]
	s_delay_alu instid0(TRANS32_DEP_1) | instskip(NEXT) | instid1(VALU_DEP_1)
	v_fma_f64 v[13:14], -v[9:10], v[11:12], 1.0
	v_fma_f64 v[11:12], v[13:14], v[11:12], v[11:12]
	s_delay_alu instid0(VALU_DEP_1) | instskip(NEXT) | instid1(VALU_DEP_1)
	v_fma_f64 v[13:14], -v[9:10], v[11:12], 1.0
	v_fma_f64 v[11:12], v[13:14], v[11:12], v[11:12]
	s_delay_alu instid0(VALU_DEP_1) | instskip(NEXT) | instid1(VALU_DEP_1)
	v_mul_f64_e32 v[13:14], v[15:16], v[11:12]
	v_mul_f64_e32 v[19:20], v[9:10], v[13:14]
	s_delay_alu instid0(VALU_DEP_1) | instskip(NEXT) | instid1(VALU_DEP_1)
	v_fma_f64 v[9:10], v[13:14], v[9:10], -v[19:20]
	v_fma_f64 v[5:6], v[13:14], v[5:6], v[9:10]
	s_delay_alu instid0(VALU_DEP_1) | instskip(NEXT) | instid1(VALU_DEP_1)
	v_add_f64_e32 v[9:10], v[19:20], v[5:6]
	v_add_f64_e64 v[17:18], v[15:16], -v[9:10]
	v_add_f64_e64 v[19:20], v[9:10], -v[19:20]
	s_delay_alu instid0(VALU_DEP_2) | instskip(NEXT) | instid1(VALU_DEP_2)
	v_add_f64_e64 v[15:16], v[15:16], -v[17:18]
	v_add_f64_e64 v[5:6], v[19:20], -v[5:6]
	s_delay_alu instid0(VALU_DEP_2) | instskip(NEXT) | instid1(VALU_DEP_1)
	v_add_f64_e64 v[9:10], v[15:16], -v[9:10]
	v_add_f64_e32 v[5:6], v[5:6], v[9:10]
	s_delay_alu instid0(VALU_DEP_1) | instskip(NEXT) | instid1(VALU_DEP_1)
	v_add_f64_e32 v[5:6], v[17:18], v[5:6]
	v_mul_f64_e32 v[5:6], v[11:12], v[5:6]
	s_delay_alu instid0(VALU_DEP_1) | instskip(NEXT) | instid1(VALU_DEP_1)
	v_add_f64_e32 v[9:10], v[13:14], v[5:6]
	v_mul_f64_e32 v[11:12], v[9:10], v[9:10]
	s_delay_alu instid0(VALU_DEP_1) | instskip(SKIP_4) | instid1(VALU_DEP_2)
	v_fma_f64 v[15:16], v[11:12], s[10:11], s[8:9]
	s_mov_b32 s8, 0xd7f4df2e
	s_mov_b32 s9, 0x3fc7474d
	v_mul_f64_e32 v[17:18], v[9:10], v[11:12]
	s_wait_alu 0xfffe
	v_fma_f64 v[15:16], v[11:12], v[15:16], s[8:9]
	s_mov_b32 s8, 0x16291751
	s_mov_b32 s9, 0x3fcc71c0
	s_wait_alu 0xfffe
	s_delay_alu instid0(VALU_DEP_1) | instskip(SKIP_3) | instid1(VALU_DEP_1)
	v_fma_f64 v[15:16], v[11:12], v[15:16], s[8:9]
	s_mov_b32 s8, 0x9b27acf1
	s_mov_b32 s9, 0x3fd24924
	s_wait_alu 0xfffe
	v_fma_f64 v[15:16], v[11:12], v[15:16], s[8:9]
	s_mov_b32 s8, 0x998ef7b6
	s_mov_b32 s9, 0x3fd99999
	s_wait_alu 0xfffe
	s_delay_alu instid0(VALU_DEP_1) | instskip(NEXT) | instid1(VALU_DEP_1)
	v_fma_f64 v[15:16], v[11:12], v[15:16], s[8:9]
	v_fma_f64 v[11:12], v[11:12], v[15:16], s[0:1]
	v_ldexp_f64 v[15:16], v[9:10], 1
	v_add_f64_e64 v[9:10], v[9:10], -v[13:14]
	s_delay_alu instid0(VALU_DEP_3) | instskip(SKIP_1) | instid1(VALU_DEP_3)
	v_mul_f64_e32 v[11:12], v[17:18], v[11:12]
	v_cvt_f64_i32_e32 v[17:18], v0
	v_add_f64_e64 v[5:6], v[5:6], -v[9:10]
	s_delay_alu instid0(VALU_DEP_3) | instskip(NEXT) | instid1(VALU_DEP_3)
	v_add_f64_e32 v[13:14], v[15:16], v[11:12]
	v_mul_f64_e32 v[19:20], s[6:7], v[17:18]
	s_delay_alu instid0(VALU_DEP_3) | instskip(NEXT) | instid1(VALU_DEP_3)
	v_ldexp_f64 v[5:6], v[5:6], 1
	v_add_f64_e64 v[9:10], v[13:14], -v[15:16]
	s_delay_alu instid0(VALU_DEP_3) | instskip(NEXT) | instid1(VALU_DEP_2)
	v_fma_f64 v[15:16], v[17:18], s[6:7], -v[19:20]
	v_add_f64_e64 v[9:10], v[11:12], -v[9:10]
	s_delay_alu instid0(VALU_DEP_2) | instskip(NEXT) | instid1(VALU_DEP_2)
	v_fma_f64 v[11:12], v[17:18], s[4:5], v[15:16]
	v_add_f64_e32 v[5:6], v[5:6], v[9:10]
	s_delay_alu instid0(VALU_DEP_2) | instskip(NEXT) | instid1(VALU_DEP_2)
	v_add_f64_e32 v[9:10], v[19:20], v[11:12]
	v_add_f64_e32 v[15:16], v[13:14], v[5:6]
	s_delay_alu instid0(VALU_DEP_2) | instskip(NEXT) | instid1(VALU_DEP_2)
	v_add_f64_e64 v[19:20], v[9:10], -v[19:20]
	v_add_f64_e32 v[17:18], v[9:10], v[15:16]
	v_add_f64_e64 v[13:14], v[15:16], -v[13:14]
	s_delay_alu instid0(VALU_DEP_3) | instskip(NEXT) | instid1(VALU_DEP_3)
	v_add_f64_e64 v[11:12], v[11:12], -v[19:20]
	v_add_f64_e64 v[21:22], v[17:18], -v[9:10]
	s_delay_alu instid0(VALU_DEP_3) | instskip(NEXT) | instid1(VALU_DEP_2)
	v_add_f64_e64 v[5:6], v[5:6], -v[13:14]
	v_add_f64_e64 v[23:24], v[17:18], -v[21:22]
	;; [unrolled: 1-line block ×3, first 2 shown]
	s_delay_alu instid0(VALU_DEP_3) | instskip(NEXT) | instid1(VALU_DEP_3)
	v_add_f64_e32 v[15:16], v[11:12], v[5:6]
	v_add_f64_e64 v[9:10], v[9:10], -v[23:24]
	s_delay_alu instid0(VALU_DEP_1) | instskip(NEXT) | instid1(VALU_DEP_3)
	v_add_f64_e32 v[9:10], v[13:14], v[9:10]
	v_add_f64_e64 v[13:14], v[15:16], -v[11:12]
	s_delay_alu instid0(VALU_DEP_2) | instskip(NEXT) | instid1(VALU_DEP_2)
	v_add_f64_e32 v[9:10], v[15:16], v[9:10]
	v_add_f64_e64 v[15:16], v[15:16], -v[13:14]
	v_add_f64_e64 v[5:6], v[5:6], -v[13:14]
	s_delay_alu instid0(VALU_DEP_3) | instskip(NEXT) | instid1(VALU_DEP_3)
	v_add_f64_e32 v[19:20], v[17:18], v[9:10]
	v_add_f64_e64 v[11:12], v[11:12], -v[15:16]
	s_delay_alu instid0(VALU_DEP_2) | instskip(NEXT) | instid1(VALU_DEP_2)
	v_add_f64_e64 v[13:14], v[19:20], -v[17:18]
	v_add_f64_e32 v[5:6], v[5:6], v[11:12]
	s_delay_alu instid0(VALU_DEP_2) | instskip(NEXT) | instid1(VALU_DEP_1)
	v_add_f64_e64 v[9:10], v[9:10], -v[13:14]
	v_add_f64_e32 v[5:6], v[5:6], v[9:10]
	s_delay_alu instid0(VALU_DEP_1) | instskip(SKIP_1) | instid1(VALU_DEP_1)
	v_add_f64_e32 v[5:6], v[19:20], v[5:6]
	s_wait_alu 0xfffd
	v_dual_cndmask_b32 v0, v5, v3 :: v_dual_cndmask_b32 v5, v6, v4
	v_cmp_ngt_f64_e32 vcc_lo, 0, v[3:4]
	s_wait_alu 0xfffd
	s_delay_alu instid0(VALU_DEP_2)
	v_cndmask_b32_e32 v6, 0x7ff80000, v5, vcc_lo
	v_cmp_nge_f64_e32 vcc_lo, 0, v[3:4]
	s_wait_alu 0xfffd
	v_cndmask_b32_e32 v5, 0, v0, vcc_lo
	v_cmp_neq_f64_e32 vcc_lo, 0, v[3:4]
	s_wait_alu 0xfffd
	v_cndmask_b32_e32 v6, 0xfff00000, v6, vcc_lo
	v_add_co_u32 v0, vcc_lo, s18, v1
	s_wait_alu 0xfffd
	v_add_co_ci_u32_e64 v1, null, s19, v2, vcc_lo
	s_delay_alu instid0(VALU_DEP_3) | instskip(NEXT) | instid1(VALU_DEP_1)
	v_add_f64_e32 v[3:4], v[7:8], v[5:6]
	v_xor_b32_e32 v4, 0x80000000, v4
	global_store_b64 v[0:1], v[3:4], off
.LBB1_49:
	s_wait_alu 0xfffe
	s_or_b32 exec_lo, exec_lo, s3
                                        ; implicit-def: $vgpr0
                                        ; implicit-def: $vgpr1_vgpr2
                                        ; implicit-def: $vgpr3_vgpr4
.LBB1_50:
	s_and_not1_saveexec_b32 s0, s33
	s_cbranch_execz .LBB1_53
; %bb.51:
	v_and_b32_e32 v0, 0x3ff, v0
	s_delay_alu instid0(VALU_DEP_1)
	v_cmp_eq_u32_e32 vcc_lo, 0, v0
	s_and_b32 exec_lo, exec_lo, vcc_lo
	s_cbranch_execz .LBB1_53
; %bb.52:
	v_add_co_u32 v0, vcc_lo, s18, v1
	s_wait_alu 0xfffd
	v_add_co_ci_u32_e64 v1, null, s19, v2, vcc_lo
	s_wait_loadcnt 0x0
	v_cmp_eq_u64_e32 vcc_lo, 0, v[3:4]
	v_bfrev_b32_e32 v5, 1
	s_wait_alu 0xfffd
	s_delay_alu instid0(VALU_DEP_1)
	v_dual_mov_b32 v2, 0 :: v_dual_cndmask_b32 v3, 0x7ff00000, v5
	global_store_b64 v[0:1], v[2:3], off
.LBB1_53:
	s_endpgm
	.section	.rodata,"a",@progbits
	.p2align	6, 0x0
	.amdhsa_kernel _ZN2at6native12_GLOBAL__N_129ctc_loss_log_alpha_gpu_kernelIdiEEvPT_PKS3_PKllPKT0_S8_lS4_llllllS8_lll
		.amdhsa_group_segment_fixed_size 0
		.amdhsa_private_segment_fixed_size 0
		.amdhsa_kernarg_size 400
		.amdhsa_user_sgpr_count 2
		.amdhsa_user_sgpr_dispatch_ptr 0
		.amdhsa_user_sgpr_queue_ptr 0
		.amdhsa_user_sgpr_kernarg_segment_ptr 1
		.amdhsa_user_sgpr_dispatch_id 0
		.amdhsa_user_sgpr_private_segment_size 0
		.amdhsa_wavefront_size32 1
		.amdhsa_uses_dynamic_stack 0
		.amdhsa_enable_private_segment 0
		.amdhsa_system_sgpr_workgroup_id_x 1
		.amdhsa_system_sgpr_workgroup_id_y 1
		.amdhsa_system_sgpr_workgroup_id_z 0
		.amdhsa_system_sgpr_workgroup_info 0
		.amdhsa_system_vgpr_workitem_id 1
		.amdhsa_next_free_vgpr 60
		.amdhsa_next_free_sgpr 91
		.amdhsa_reserve_vcc 1
		.amdhsa_float_round_mode_32 0
		.amdhsa_float_round_mode_16_64 0
		.amdhsa_float_denorm_mode_32 3
		.amdhsa_float_denorm_mode_16_64 3
		.amdhsa_fp16_overflow 0
		.amdhsa_workgroup_processor_mode 1
		.amdhsa_memory_ordered 1
		.amdhsa_forward_progress 1
		.amdhsa_inst_pref_size 50
		.amdhsa_round_robin_scheduling 0
		.amdhsa_exception_fp_ieee_invalid_op 0
		.amdhsa_exception_fp_denorm_src 0
		.amdhsa_exception_fp_ieee_div_zero 0
		.amdhsa_exception_fp_ieee_overflow 0
		.amdhsa_exception_fp_ieee_underflow 0
		.amdhsa_exception_fp_ieee_inexact 0
		.amdhsa_exception_int_div_zero 0
	.end_amdhsa_kernel
	.section	.text._ZN2at6native12_GLOBAL__N_129ctc_loss_log_alpha_gpu_kernelIdiEEvPT_PKS3_PKllPKT0_S8_lS4_llllllS8_lll,"axG",@progbits,_ZN2at6native12_GLOBAL__N_129ctc_loss_log_alpha_gpu_kernelIdiEEvPT_PKS3_PKllPKT0_S8_lS4_llllllS8_lll,comdat
.Lfunc_end1:
	.size	_ZN2at6native12_GLOBAL__N_129ctc_loss_log_alpha_gpu_kernelIdiEEvPT_PKS3_PKllPKT0_S8_lS4_llllllS8_lll, .Lfunc_end1-_ZN2at6native12_GLOBAL__N_129ctc_loss_log_alpha_gpu_kernelIdiEEvPT_PKS3_PKllPKT0_S8_lS4_llllllS8_lll
                                        ; -- End function
	.set _ZN2at6native12_GLOBAL__N_129ctc_loss_log_alpha_gpu_kernelIdiEEvPT_PKS3_PKllPKT0_S8_lS4_llllllS8_lll.num_vgpr, 60
	.set _ZN2at6native12_GLOBAL__N_129ctc_loss_log_alpha_gpu_kernelIdiEEvPT_PKS3_PKllPKT0_S8_lS4_llllllS8_lll.num_agpr, 0
	.set _ZN2at6native12_GLOBAL__N_129ctc_loss_log_alpha_gpu_kernelIdiEEvPT_PKS3_PKllPKT0_S8_lS4_llllllS8_lll.numbered_sgpr, 91
	.set _ZN2at6native12_GLOBAL__N_129ctc_loss_log_alpha_gpu_kernelIdiEEvPT_PKS3_PKllPKT0_S8_lS4_llllllS8_lll.num_named_barrier, 0
	.set _ZN2at6native12_GLOBAL__N_129ctc_loss_log_alpha_gpu_kernelIdiEEvPT_PKS3_PKllPKT0_S8_lS4_llllllS8_lll.private_seg_size, 0
	.set _ZN2at6native12_GLOBAL__N_129ctc_loss_log_alpha_gpu_kernelIdiEEvPT_PKS3_PKllPKT0_S8_lS4_llllllS8_lll.uses_vcc, 1
	.set _ZN2at6native12_GLOBAL__N_129ctc_loss_log_alpha_gpu_kernelIdiEEvPT_PKS3_PKllPKT0_S8_lS4_llllllS8_lll.uses_flat_scratch, 0
	.set _ZN2at6native12_GLOBAL__N_129ctc_loss_log_alpha_gpu_kernelIdiEEvPT_PKS3_PKllPKT0_S8_lS4_llllllS8_lll.has_dyn_sized_stack, 0
	.set _ZN2at6native12_GLOBAL__N_129ctc_loss_log_alpha_gpu_kernelIdiEEvPT_PKS3_PKllPKT0_S8_lS4_llllllS8_lll.has_recursion, 0
	.set _ZN2at6native12_GLOBAL__N_129ctc_loss_log_alpha_gpu_kernelIdiEEvPT_PKS3_PKllPKT0_S8_lS4_llllllS8_lll.has_indirect_call, 0
	.section	.AMDGPU.csdata,"",@progbits
; Kernel info:
; codeLenInByte = 6348
; TotalNumSgprs: 93
; NumVgprs: 60
; ScratchSize: 0
; MemoryBound: 0
; FloatMode: 240
; IeeeMode: 1
; LDSByteSize: 0 bytes/workgroup (compile time only)
; SGPRBlocks: 0
; VGPRBlocks: 7
; NumSGPRsForWavesPerEU: 93
; NumVGPRsForWavesPerEU: 60
; Occupancy: 16
; WaveLimiterHint : 1
; COMPUTE_PGM_RSRC2:SCRATCH_EN: 0
; COMPUTE_PGM_RSRC2:USER_SGPR: 2
; COMPUTE_PGM_RSRC2:TRAP_HANDLER: 0
; COMPUTE_PGM_RSRC2:TGID_X_EN: 1
; COMPUTE_PGM_RSRC2:TGID_Y_EN: 1
; COMPUTE_PGM_RSRC2:TGID_Z_EN: 0
; COMPUTE_PGM_RSRC2:TIDIG_COMP_CNT: 1
	.section	.text._ZN2at6native12_GLOBAL__N_129ctc_loss_log_alpha_gpu_kernelIflEEvPT_PKS3_PKllPKT0_S8_lS4_llllllS8_lll,"axG",@progbits,_ZN2at6native12_GLOBAL__N_129ctc_loss_log_alpha_gpu_kernelIflEEvPT_PKS3_PKllPKT0_S8_lS4_llllllS8_lll,comdat
	.globl	_ZN2at6native12_GLOBAL__N_129ctc_loss_log_alpha_gpu_kernelIflEEvPT_PKS3_PKllPKT0_S8_lS4_llllllS8_lll ; -- Begin function _ZN2at6native12_GLOBAL__N_129ctc_loss_log_alpha_gpu_kernelIflEEvPT_PKS3_PKllPKT0_S8_lS4_llllllS8_lll
	.p2align	8
	.type	_ZN2at6native12_GLOBAL__N_129ctc_loss_log_alpha_gpu_kernelIflEEvPT_PKS3_PKllPKT0_S8_lS4_llllllS8_lll,@function
_ZN2at6native12_GLOBAL__N_129ctc_loss_log_alpha_gpu_kernelIflEEvPT_PKS3_PKllPKT0_S8_lS4_llllllS8_lll: ; @_ZN2at6native12_GLOBAL__N_129ctc_loss_log_alpha_gpu_kernelIflEEvPT_PKS3_PKllPKT0_S8_lS4_llllllS8_lll
; %bb.0:
	s_clause 0x1
	s_load_u16 s2, s[0:1], 0x9e
	s_load_b128 s[16:19], s[0:1], 0x78
	v_bfe_u32 v1, v0, 10, 10
	s_wait_kmcnt 0x0
	s_delay_alu instid0(VALU_DEP_1) | instskip(SKIP_2) | instid1(VALU_DEP_1)
	v_mad_co_u64_u32 v[1:2], null, ttmp7, s2, v[1:2]
	v_mov_b32_e32 v2, 0
	s_mov_b32 s2, exec_lo
	v_cmpx_gt_i64_e64 s[18:19], v[1:2]
	s_cbranch_execz .LBB2_53
; %bb.1:
	s_clause 0x1
	s_load_b64 s[2:3], s[0:1], 0x10
	s_load_b64 s[4:5], s[0:1], 0x28
	v_lshlrev_b64_e32 v[7:8], 3, v[1:2]
	s_load_b64 s[18:19], s[0:1], 0x38
	s_wait_kmcnt 0x0
	s_delay_alu instid0(VALU_DEP_1) | instskip(NEXT) | instid1(VALU_DEP_1)
	v_add_co_u32 v3, vcc_lo, s2, v7
	v_add_co_ci_u32_e64 v4, null, s3, v8, vcc_lo
	s_mov_b32 s2, exec_lo
	global_load_b64 v[5:6], v[3:4], off
	v_add_co_u32 v3, vcc_lo, s4, v7
	s_wait_alu 0xfffd
	v_add_co_ci_u32_e64 v4, null, s5, v8, vcc_lo
	global_load_b64 v[3:4], v[3:4], off
	s_wait_loadcnt 0x1
	v_cmpx_ne_u64_e32 0, v[5:6]
	s_wait_alu 0xfffe
	s_xor_b32 s33, exec_lo, s2
	s_cbranch_execz .LBB2_50
; %bb.2:
	s_clause 0x3
	s_load_b64 s[2:3], s[0:1], 0x70
	s_load_b128 s[12:15], s[0:1], 0x60
	s_load_b256 s[4:11], s[0:1], 0x40
	s_load_b64 s[24:25], s[0:1], 0x88
	v_and_b32_e32 v0, 0x3ff, v0
	s_add_nc_u64 s[26:27], s[0:1], 0x90
	s_wait_kmcnt 0x0
	v_add_co_u32 v7, vcc_lo, s2, v7
	s_wait_alu 0xfffd
	v_add_co_ci_u32_e64 v8, null, s3, v8, vcc_lo
	v_mad_co_u64_u32 v[13:14], null, s10, v1, 0
	v_mad_co_u64_u32 v[9:10], null, s6, v1, 0
	global_load_b64 v[7:8], v[7:8], off
	s_clause 0x2
	s_load_b64 s[30:31], s[0:1], 0x30
	s_load_b128 s[20:23], s[0:1], 0x0
	s_load_b64 s[28:29], s[0:1], 0x20
	v_mov_b32_e32 v11, v14
	s_delay_alu instid0(VALU_DEP_1) | instskip(NEXT) | instid1(VALU_DEP_1)
	v_mad_co_u64_u32 v[14:15], null, s7, v1, v[10:11]
	v_mov_b32_e32 v10, v14
	v_mad_co_u64_u32 v[11:12], null, s11, v1, v[11:12]
	s_wait_kmcnt 0x0
	v_cmp_gt_i64_e64 s3, s[30:31], -1
	s_lshl_b64 s[6:7], s[30:31], 1
	v_lshlrev_b64_e32 v[19:20], 2, v[9:10]
	v_mov_b32_e32 v14, v11
	s_and_b32 vcc_lo, exec_lo, s3
	s_wait_loadcnt 0x0
	v_lshlrev_b64_e32 v[11:12], 3, v[7:8]
	s_delay_alu instid0(VALU_DEP_2)
	v_lshlrev_b64_e32 v[7:8], 2, v[13:14]
	s_wait_alu 0xfffe
	s_cbranch_vccz .LBB2_17
; %bb.3:
	v_mad_co_u64_u32 v[13:14], null, s14, v0, 0
	s_load_b32 s10, s[26:27], 0xc
	s_mul_u64 s[30:31], s[24:25], s[8:9]
	s_mov_b32 s11, 0
	s_wait_alu 0xfffe
	s_lshl_b64 s[30:31], s[30:31], 2
	v_cmp_ne_u64_e64 s2, 0, v[3:4]
	v_mov_b32_e32 v9, v14
	s_delay_alu instid0(VALU_DEP_1) | instskip(SKIP_4) | instid1(VALU_DEP_4)
	v_mad_co_u64_u32 v[14:15], null, s15, v0, v[9:10]
	v_add_co_u32 v9, vcc_lo, s28, v11
	s_wait_alu 0xfffd
	v_add_co_ci_u32_e64 v10, null, s29, v12, vcc_lo
	v_add_co_u32 v21, vcc_lo, s22, v19
	v_lshlrev_b64_e32 v[15:16], 2, v[13:14]
	s_wait_alu 0xfffd
	v_add_co_ci_u32_e64 v22, null, s23, v20, vcc_lo
	s_wait_alu 0xfffe
	v_add_co_u32 v13, vcc_lo, v21, s30
	s_wait_kmcnt 0x0
	s_and_b32 s10, s10, 0xffff
	s_wait_alu 0xfffd
	v_add_co_ci_u32_e64 v14, null, s31, v22, vcc_lo
	v_add_co_u32 v15, vcc_lo, v15, v7
	s_wait_alu 0xfffd
	v_add_co_ci_u32_e64 v16, null, v16, v8, vcc_lo
	s_wait_alu 0xfffe
	s_mul_u64 s[34:35], s[14:15], s[10:11]
	v_add_co_u32 v15, vcc_lo, s20, v15
	s_wait_alu 0xfffd
	v_add_co_ci_u32_e64 v16, null, s21, v16, vcc_lo
	s_mov_b64 s[30:31], 0
	s_lshl_b64 s[34:35], s[34:35], 2
	s_branch .LBB2_5
.LBB2_4:                                ;   in Loop: Header=BB2_5 Depth=1
	s_wait_alu 0xfffe
	s_or_b32 exec_lo, exec_lo, s36
	s_add_nc_u64 s[30:31], s[30:31], s[10:11]
	v_add_co_u32 v15, vcc_lo, v15, s34
	s_wait_alu 0xfffe
	v_cmp_gt_i64_e64 s36, s[30:31], s[6:7]
	s_wait_alu 0xfffd
	v_add_co_ci_u32_e64 v16, null, s35, v16, vcc_lo
	s_and_b32 vcc_lo, exec_lo, s36
	s_wait_alu 0xfffe
	s_cbranch_vccnz .LBB2_17
.LBB2_5:                                ; =>This Inner Loop Header: Depth=1
	s_wait_alu 0xfffe
	v_add_co_u32 v17, s36, v0, s30
	s_wait_alu 0xf1ff
	v_add_co_ci_u32_e64 v18, null, 0, s31, s36
	s_mov_b32 s36, exec_lo
                                        ; implicit-def: $vgpr23
	v_cmpx_lt_i64_e32 0, v[17:18]
	s_wait_alu 0xfffe
	s_xor_b32 s36, exec_lo, s36
	s_cbranch_execnz .LBB2_8
; %bb.6:                                ;   in Loop: Header=BB2_5 Depth=1
	s_wait_alu 0xfffe
	s_and_not1_saveexec_b32 s36, s36
	s_cbranch_execnz .LBB2_13
.LBB2_7:                                ;   in Loop: Header=BB2_5 Depth=1
	s_wait_alu 0xfffe
	s_or_b32 exec_lo, exec_lo, s36
	s_delay_alu instid0(SALU_CYCLE_1)
	s_mov_b32 s36, exec_lo
	v_cmpx_ge_i64_e64 s[6:7], v[17:18]
	s_cbranch_execz .LBB2_4
	s_branch .LBB2_16
.LBB2_8:                                ;   in Loop: Header=BB2_5 Depth=1
	s_wait_loadcnt 0x0
	v_mov_b32_e32 v23, 0xff800000
	s_mov_b32 s37, exec_lo
	v_cmpx_eq_u64_e32 1, v[17:18]
	s_cbranch_execz .LBB2_12
; %bb.9:                                ;   in Loop: Header=BB2_5 Depth=1
	v_mov_b32_e32 v23, 0xff800000
	s_and_saveexec_b32 s38, s2
	s_cbranch_execz .LBB2_11
; %bb.10:                               ;   in Loop: Header=BB2_5 Depth=1
	global_load_b64 v[23:24], v[9:10], off
	s_wait_loadcnt 0x0
	v_mul_lo_u32 v25, v24, s8
	v_mul_lo_u32 v26, v23, s9
	v_mad_co_u64_u32 v[23:24], null, v23, s8, 0
	s_delay_alu instid0(VALU_DEP_1) | instskip(NEXT) | instid1(VALU_DEP_1)
	v_add3_u32 v24, v24, v26, v25
	v_lshlrev_b64_e32 v[23:24], 2, v[23:24]
	s_delay_alu instid0(VALU_DEP_1) | instskip(SKIP_1) | instid1(VALU_DEP_2)
	v_add_co_u32 v23, vcc_lo, v21, v23
	s_wait_alu 0xfffd
	v_add_co_ci_u32_e64 v24, null, v22, v24, vcc_lo
	global_load_b32 v23, v[23:24], off
.LBB2_11:                               ;   in Loop: Header=BB2_5 Depth=1
	s_or_b32 exec_lo, exec_lo, s38
.LBB2_12:                               ;   in Loop: Header=BB2_5 Depth=1
	s_wait_alu 0xfffe
	s_or_b32 exec_lo, exec_lo, s37
	s_and_not1_saveexec_b32 s36, s36
	s_cbranch_execz .LBB2_7
.LBB2_13:                               ;   in Loop: Header=BB2_5 Depth=1
	s_wait_loadcnt 0x0
	v_mov_b32_e32 v23, 0xff800000
	s_mov_b32 s37, exec_lo
	v_cmpx_eq_u64_e32 0, v[17:18]
	s_cbranch_execz .LBB2_15
; %bb.14:                               ;   in Loop: Header=BB2_5 Depth=1
	global_load_b32 v23, v[13:14], off
.LBB2_15:                               ;   in Loop: Header=BB2_5 Depth=1
	s_wait_alu 0xfffe
	s_or_b32 exec_lo, exec_lo, s37
	s_delay_alu instid0(SALU_CYCLE_1) | instskip(NEXT) | instid1(SALU_CYCLE_1)
	s_or_b32 exec_lo, exec_lo, s36
	s_mov_b32 s36, exec_lo
	v_cmpx_ge_i64_e64 s[6:7], v[17:18]
	s_cbranch_execz .LBB2_4
.LBB2_16:                               ;   in Loop: Header=BB2_5 Depth=1
	s_wait_loadcnt 0x0
	global_store_b32 v[15:16], v23, off
	s_branch .LBB2_4
.LBB2_17:
	v_cmp_lt_i64_e64 s2, 0, v[3:4]
	s_and_not1_b32 vcc_lo, exec_lo, s3
	s_wait_alu 0xfffe
	s_cbranch_vccnz .LBB2_45
; %bb.18:
	s_load_b64 s[10:11], s[0:1], 0x18
	s_load_b32 s0, s[26:27], 0xc
	v_add_co_u32 v16, s1, v0, -2
	s_wait_alu 0xf1ff
	v_add_co_ci_u32_e64 v17, null, 0, -1, s1
	v_mad_co_u64_u32 v[13:14], null, s14, v0, 0
	v_add_co_u32 v31, vcc_lo, s28, v11
	s_wait_alu 0xfffd
	v_add_co_ci_u32_e64 v32, null, s29, v12, vcc_lo
	v_mul_lo_u32 v12, s14, v17
	v_mul_lo_u32 v11, s15, v16
	v_mad_co_u64_u32 v[14:15], null, s15, v0, v[14:15]
	v_mad_co_u64_u32 v[15:16], null, s14, v16, 0
	s_lshl_b64 s[28:29], s[12:13], 2
	s_lshl_b64 s[4:5], s[4:5], 2
	s_mov_b32 s27, 0
	s_wait_kmcnt 0x0
	s_and_b32 s26, s0, 0xffff
	v_add_co_u32 v17, s0, v0, -1
	s_wait_alu 0xf1ff
	v_add_co_ci_u32_e64 v18, null, 0, -1, s0
	v_add3_u32 v16, v16, v12, v11
	s_delay_alu instid0(VALU_DEP_3) | instskip(SKIP_1) | instid1(VALU_DEP_4)
	v_mul_lo_u32 v21, s15, v17
	v_lshlrev_b64_e32 v[13:14], 2, v[13:14]
	v_mul_lo_u32 v22, s14, v18
	v_mad_co_u64_u32 v[17:18], null, s14, v17, 0
	s_wait_alu 0xfffe
	s_add_nc_u64 s[0:1], s[20:21], s[28:29]
	v_lshlrev_b64_e32 v[15:16], 2, v[15:16]
	s_wait_alu 0xfffe
	v_add_co_u32 v11, vcc_lo, s0, v13
	s_wait_alu 0xfffd
	v_add_co_ci_u32_e64 v12, null, s1, v14, vcc_lo
	v_add3_u32 v18, v18, v22, v21
	v_add_co_u32 v13, vcc_lo, s20, v13
	s_wait_alu 0xfffd
	v_add_co_ci_u32_e64 v14, null, s21, v14, vcc_lo
	s_delay_alu instid0(VALU_DEP_3)
	v_lshlrev_b64_e32 v[17:18], 2, v[17:18]
	v_add_co_u32 v15, vcc_lo, s20, v15
	s_wait_alu 0xfffd
	v_add_co_ci_u32_e64 v16, null, s21, v16, vcc_lo
	s_add_nc_u64 s[22:23], s[22:23], s[4:5]
	v_add_co_u32 v17, vcc_lo, s20, v17
	s_wait_alu 0xfffd
	v_add_co_ci_u32_e64 v18, null, s21, v18, vcc_lo
	s_wait_alu 0xfffe
	v_add_co_u32 v19, vcc_lo, s22, v19
	v_lshlrev_b64_e32 v[9:10], 1, v[3:4]
	v_cmp_gt_i64_e64 s36, s[10:11], 1
	s_wait_alu 0xfffd
	v_add_co_ci_u32_e64 v20, null, s23, v20, vcc_lo
	s_mul_u64 s[0:1], s[14:15], s[26:27]
	s_mov_b64 s[22:23], 0
	s_wait_alu 0xfffe
	s_lshl_b64 s[30:31], s[0:1], 2
	s_lshl_b64 s[8:9], s[8:9], 2
	s_branch .LBB2_20
.LBB2_19:                               ;   in Loop: Header=BB2_20 Depth=1
	v_add_co_u32 v11, vcc_lo, v11, s30
	s_wait_alu 0xfffd
	v_add_co_ci_u32_e64 v12, null, s31, v12, vcc_lo
	v_add_co_u32 v13, vcc_lo, v13, s30
	s_add_nc_u64 s[22:23], s[22:23], s[26:27]
	s_wait_alu 0xfffd
	v_add_co_ci_u32_e64 v14, null, s31, v14, vcc_lo
	v_add_co_u32 v15, vcc_lo, v15, s30
	s_wait_alu 0xfffe
	v_cmp_gt_i64_e64 s0, s[22:23], s[6:7]
	s_wait_alu 0xfffd
	v_add_co_ci_u32_e64 v16, null, s31, v16, vcc_lo
	v_add_co_u32 v17, vcc_lo, v17, s30
	s_wait_alu 0xfffd
	v_add_co_ci_u32_e64 v18, null, s31, v18, vcc_lo
	s_and_b32 vcc_lo, exec_lo, s0
	s_wait_alu 0xfffe
	s_cbranch_vccnz .LBB2_45
.LBB2_20:                               ; =>This Loop Header: Depth=1
                                        ;     Child Loop BB2_31 Depth 2
	s_wait_loadcnt 0x0
	v_add_co_u32 v23, s0, s22, v0
	s_wait_alu 0xf1ff
	v_add_co_ci_u32_e64 v24, null, s23, 0, s0
	v_dual_mov_b32 v26, s25 :: v_dual_mov_b32 v25, s24
	s_mov_b32 s37, 0
	s_delay_alu instid0(VALU_DEP_2)
	v_cmp_le_i64_e64 s1, v[23:24], v[9:10]
	s_and_b32 s0, s2, s1
	s_wait_alu 0xfffe
	s_and_saveexec_b32 s3, s0
	s_cbranch_execz .LBB2_28
; %bb.21:                               ;   in Loop: Header=BB2_20 Depth=1
	v_dual_mov_b32 v26, s25 :: v_dual_and_b32 v21, 1, v23
	v_mov_b32_e32 v25, s24
	s_delay_alu instid0(VALU_DEP_2)
	v_cmp_eq_u32_e32 vcc_lo, 1, v21
	s_and_saveexec_b32 s34, vcc_lo
	s_cbranch_execz .LBB2_23
; %bb.22:                               ;   in Loop: Header=BB2_20 Depth=1
	v_alignbit_b32 v21, v24, v23, 1
	v_lshrrev_b32_e32 v25, 1, v24
	s_delay_alu instid0(VALU_DEP_2) | instskip(SKIP_1) | instid1(VALU_DEP_3)
	v_mul_lo_u32 v26, v21, s17
	v_mad_co_u64_u32 v[21:22], null, v21, s16, 0
	v_mul_lo_u32 v25, v25, s16
	s_delay_alu instid0(VALU_DEP_1) | instskip(NEXT) | instid1(VALU_DEP_1)
	v_add3_u32 v22, v22, v26, v25
	v_lshlrev_b64_e32 v[21:22], 3, v[21:22]
	s_delay_alu instid0(VALU_DEP_1) | instskip(SKIP_1) | instid1(VALU_DEP_2)
	v_add_co_u32 v21, s0, v31, v21
	s_wait_alu 0xf1ff
	v_add_co_ci_u32_e64 v22, null, v32, v22, s0
	global_load_b64 v[25:26], v[21:22], off
.LBB2_23:                               ;   in Loop: Header=BB2_20 Depth=1
	s_wait_alu 0xfffe
	s_or_b32 exec_lo, exec_lo, s34
	s_mov_b32 s35, 0
	s_mov_b32 s34, exec_lo
	v_cmpx_lt_u64_e32 1, v[23:24]
	s_cbranch_execz .LBB2_27
; %bb.24:                               ;   in Loop: Header=BB2_20 Depth=1
	v_dual_mov_b32 v21, s24 :: v_dual_mov_b32 v22, s25
	s_and_saveexec_b32 s0, vcc_lo
	s_cbranch_execz .LBB2_26
; %bb.25:                               ;   in Loop: Header=BB2_20 Depth=1
	v_add_co_u32 v21, vcc_lo, v23, -2
	s_wait_alu 0xfffd
	v_add_co_ci_u32_e64 v22, null, -1, v24, vcc_lo
	s_delay_alu instid0(VALU_DEP_1) | instskip(NEXT) | instid1(VALU_DEP_1)
	v_lshrrev_b32_e32 v27, 31, v22
	v_add_co_u32 v21, vcc_lo, v21, v27
	s_wait_alu 0xfffd
	v_add_co_ci_u32_e64 v22, null, 0, v22, vcc_lo
	s_delay_alu instid0(VALU_DEP_1) | instskip(NEXT) | instid1(VALU_DEP_1)
	v_ashrrev_i64 v[21:22], 1, v[21:22]
	v_mul_lo_u32 v27, v22, s16
	s_delay_alu instid0(VALU_DEP_2) | instskip(SKIP_1) | instid1(VALU_DEP_1)
	v_mul_lo_u32 v28, v21, s17
	v_mad_co_u64_u32 v[21:22], null, v21, s16, 0
	v_add3_u32 v22, v22, v28, v27
	s_delay_alu instid0(VALU_DEP_1) | instskip(NEXT) | instid1(VALU_DEP_1)
	v_lshlrev_b64_e32 v[21:22], 3, v[21:22]
	v_add_co_u32 v21, vcc_lo, v31, v21
	s_wait_alu 0xfffd
	s_delay_alu instid0(VALU_DEP_2)
	v_add_co_ci_u32_e64 v22, null, v32, v22, vcc_lo
	global_load_b64 v[21:22], v[21:22], off
.LBB2_26:                               ;   in Loop: Header=BB2_20 Depth=1
	s_wait_alu 0xfffe
	s_or_b32 exec_lo, exec_lo, s0
	s_wait_loadcnt 0x0
	v_cmp_ne_u64_e32 vcc_lo, v[21:22], v[25:26]
	s_and_b32 s35, vcc_lo, exec_lo
.LBB2_27:                               ;   in Loop: Header=BB2_20 Depth=1
	s_wait_alu 0xfffe
	s_or_b32 exec_lo, exec_lo, s34
	s_delay_alu instid0(SALU_CYCLE_1)
	s_and_b32 s37, s35, exec_lo
.LBB2_28:                               ;   in Loop: Header=BB2_20 Depth=1
	s_wait_alu 0xfffe
	s_or_b32 exec_lo, exec_lo, s3
	s_delay_alu instid0(SALU_CYCLE_1)
	s_and_not1_b32 vcc_lo, exec_lo, s36
	s_wait_alu 0xfffe
	s_cbranch_vccnz .LBB2_19
; %bb.29:                               ;   in Loop: Header=BB2_20 Depth=1
	s_wait_loadcnt 0x0
	v_mad_co_u64_u32 v[21:22], null, s8, v25, v[19:20]
	v_mul_lo_u32 v27, s8, v26
	v_mul_lo_u32 v28, s9, v25
	v_cmp_ne_u64_e64 s0, 0, v[23:24]
	v_cmp_ge_i64_e32 vcc_lo, s[6:7], v[23:24]
	v_dual_mov_b32 v24, v18 :: v_dual_mov_b32 v23, v17
	v_dual_mov_b32 v26, v16 :: v_dual_mov_b32 v25, v15
	;; [unrolled: 1-line block ×3, first 2 shown]
	v_add3_u32 v22, v28, v22, v27
	v_dual_mov_b32 v28, v14 :: v_dual_mov_b32 v27, v13
	s_mov_b64 s[34:35], 1
	s_xor_b32 s38, s1, -1
	s_branch .LBB2_31
.LBB2_30:                               ;   in Loop: Header=BB2_31 Depth=2
	s_wait_alu 0xfffe
	s_or_b32 exec_lo, exec_lo, s3
	v_add_co_u32 v29, s1, v29, s28
	s_wait_alu 0xf1ff
	v_add_co_ci_u32_e64 v30, null, s29, v30, s1
	v_add_co_u32 v27, s1, v27, s28
	s_wait_alu 0xf1ff
	v_add_co_ci_u32_e64 v28, null, s29, v28, s1
	;; [unrolled: 3-line block ×5, first 2 shown]
	s_add_nc_u64 s[34:35], s[34:35], 1
	s_wait_alu 0xfffe
	s_cmp_eq_u64 s[10:11], s[34:35]
	s_cbranch_scc1 .LBB2_19
.LBB2_31:                               ;   Parent Loop BB2_20 Depth=1
                                        ; =>  This Inner Loop Header: Depth=2
	s_wait_alu 0xfffe
	v_cmp_ge_i64_e64 s1, s[34:35], v[5:6]
	s_mov_b32 s39, 0
	s_wait_storecnt 0x0
	s_barrier_signal -1
	s_barrier_wait -1
	global_inv scope:SCOPE_SE
	s_or_b32 s1, s38, s1
	s_wait_alu 0xfffe
	s_and_saveexec_b32 s3, s1
	s_wait_alu 0xfffe
	s_xor_b32 s1, exec_lo, s3
	s_cbranch_execnz .LBB2_34
; %bb.32:                               ;   in Loop: Header=BB2_31 Depth=2
	s_wait_alu 0xfffe
	s_or_saveexec_b32 s40, s1
	v_mov_b32_e32 v33, 0xff800000
	s_xor_b32 exec_lo, exec_lo, s40
	s_cbranch_execnz .LBB2_35
.LBB2_33:                               ;   in Loop: Header=BB2_31 Depth=2
	s_or_b32 exec_lo, exec_lo, s40
	s_and_saveexec_b32 s3, s39
	s_cbranch_execz .LBB2_30
	s_branch .LBB2_44
.LBB2_34:                               ;   in Loop: Header=BB2_31 Depth=2
	s_and_b32 s39, vcc_lo, exec_lo
	s_wait_alu 0xfffe
	s_or_saveexec_b32 s40, s1
	v_mov_b32_e32 v33, 0xff800000
	s_xor_b32 exec_lo, exec_lo, s40
	s_cbranch_execz .LBB2_33
.LBB2_35:                               ;   in Loop: Header=BB2_31 Depth=2
	v_add_co_u32 v33, s1, v27, v7
	s_wait_alu 0xf1ff
	v_add_co_ci_u32_e64 v34, null, v28, v8, s1
	v_mov_b32_e32 v35, 0xff800000
	global_load_b32 v33, v[33:34], off
	v_mov_b32_e32 v34, 0xff800000
	s_wait_loadcnt 0x0
	v_mov_b32_e32 v36, v33
	s_and_saveexec_b32 s3, s0
	s_cbranch_execz .LBB2_39
; %bb.36:                               ;   in Loop: Header=BB2_31 Depth=2
	v_add_co_u32 v35, s1, v23, v7
	s_wait_alu 0xf1ff
	v_add_co_ci_u32_e64 v36, null, v24, v8, s1
	s_mov_b32 s41, exec_lo
	global_load_b32 v35, v[35:36], off
	v_mov_b32_e32 v36, v33
	s_wait_loadcnt 0x0
	v_cmpx_gt_f32_e32 v35, v33
; %bb.37:                               ;   in Loop: Header=BB2_31 Depth=2
	v_mov_b32_e32 v36, v35
; %bb.38:                               ;   in Loop: Header=BB2_31 Depth=2
	s_or_b32 exec_lo, exec_lo, s41
.LBB2_39:                               ;   in Loop: Header=BB2_31 Depth=2
	s_wait_alu 0xfffe
	s_or_b32 exec_lo, exec_lo, s3
	s_and_saveexec_b32 s3, s37
	s_cbranch_execz .LBB2_43
; %bb.40:                               ;   in Loop: Header=BB2_31 Depth=2
	v_add_co_u32 v37, s1, v25, v7
	s_wait_alu 0xf1ff
	v_add_co_ci_u32_e64 v38, null, v26, v8, s1
	s_mov_b32 s41, exec_lo
	global_load_b32 v34, v[37:38], off
	s_wait_loadcnt 0x0
	v_cmpx_gt_f32_e32 v34, v36
; %bb.41:                               ;   in Loop: Header=BB2_31 Depth=2
	v_mov_b32_e32 v36, v34
; %bb.42:                               ;   in Loop: Header=BB2_31 Depth=2
	s_or_b32 exec_lo, exec_lo, s41
.LBB2_43:                               ;   in Loop: Header=BB2_31 Depth=2
	s_wait_alu 0xfffe
	s_or_b32 exec_lo, exec_lo, s3
	global_load_b32 v37, v[21:22], off
	v_cmp_neq_f32_e64 s1, 0xff800000, v36
	s_or_b32 s39, s39, exec_lo
	s_wait_alu 0xf1ff
	v_cndmask_b32_e64 v36, 0, v36, s1
	s_delay_alu instid0(VALU_DEP_1) | instskip(NEXT) | instid1(VALU_DEP_1)
	v_sub_f32_e32 v34, v34, v36
	v_dual_sub_f32 v33, v33, v36 :: v_dual_mul_f32 v44, 0x3fb8aa3b, v34
	s_delay_alu instid0(VALU_DEP_1) | instskip(SKIP_1) | instid1(VALU_DEP_3)
	v_dual_sub_f32 v35, v35, v36 :: v_dual_mul_f32 v38, 0x3fb8aa3b, v33
	v_cmp_ngt_f32_e64 s1, 0xc2ce8ed0, v33
	v_rndne_f32_e32 v46, v44
	s_delay_alu instid0(VALU_DEP_3) | instskip(NEXT) | instid1(VALU_DEP_4)
	v_rndne_f32_e32 v41, v38
	v_mul_f32_e32 v39, 0x3fb8aa3b, v35
	v_fma_f32 v40, 0x3fb8aa3b, v33, -v38
	s_delay_alu instid0(VALU_DEP_3) | instskip(NEXT) | instid1(VALU_DEP_3)
	v_sub_f32_e32 v38, v38, v41
	v_rndne_f32_e32 v43, v39
	v_fma_f32 v42, 0x3fb8aa3b, v35, -v39
	v_cvt_i32_f32_e32 v41, v41
	s_delay_alu instid0(VALU_DEP_3) | instskip(SKIP_1) | instid1(VALU_DEP_1)
	v_sub_f32_e32 v39, v39, v43
	v_fma_f32 v45, 0x3fb8aa3b, v34, -v44
	v_dual_fmac_f32 v42, 0x32a5705f, v35 :: v_dual_fmac_f32 v45, 0x32a5705f, v34
	s_delay_alu instid0(VALU_DEP_1) | instskip(SKIP_1) | instid1(VALU_DEP_2)
	v_dual_fmac_f32 v40, 0x32a5705f, v33 :: v_dual_add_f32 v39, v39, v42
	v_cvt_i32_f32_e32 v42, v43
	v_add_f32_e32 v38, v38, v40
	s_delay_alu instid0(VALU_DEP_3) | instskip(NEXT) | instid1(VALU_DEP_1)
	v_exp_f32_e32 v39, v39
	v_exp_f32_e32 v38, v38
	s_delay_alu instid0(TRANS32_DEP_2) | instskip(NEXT) | instid1(TRANS32_DEP_1)
	v_ldexp_f32 v39, v39, v42
	v_ldexp_f32 v38, v38, v41
	v_cvt_i32_f32_e32 v41, v46
	s_wait_alu 0xf1ff
	s_delay_alu instid0(VALU_DEP_2) | instskip(SKIP_2) | instid1(VALU_DEP_1)
	v_cndmask_b32_e64 v38, 0, v38, s1
	v_cmp_ngt_f32_e64 s1, 0xc2ce8ed0, v35
	s_wait_alu 0xf1ff
	v_cndmask_b32_e64 v39, 0, v39, s1
	v_cmp_nlt_f32_e64 s1, 0x42b17218, v33
	s_wait_alu 0xf1ff
	s_delay_alu instid0(VALU_DEP_1) | instskip(SKIP_2) | instid1(VALU_DEP_1)
	v_cndmask_b32_e64 v33, 0x7f800000, v38, s1
	v_cmp_nlt_f32_e64 s1, 0x42b17218, v35
	s_wait_alu 0xf1ff
	v_cndmask_b32_e64 v35, 0x7f800000, v39, s1
	v_cmp_ngt_f32_e64 s1, 0xc2ce8ed0, v34
	s_delay_alu instid0(VALU_DEP_2) | instskip(NEXT) | instid1(VALU_DEP_1)
	v_dual_add_f32 v33, v33, v35 :: v_dual_sub_f32 v40, v44, v46
	v_add_f32_e32 v40, v40, v45
	s_delay_alu instid0(VALU_DEP_1) | instskip(NEXT) | instid1(TRANS32_DEP_1)
	v_exp_f32_e32 v40, v40
	v_ldexp_f32 v40, v40, v41
	s_wait_alu 0xf1ff
	s_delay_alu instid0(VALU_DEP_1) | instskip(SKIP_2) | instid1(VALU_DEP_1)
	v_cndmask_b32_e64 v38, 0, v40, s1
	v_cmp_nlt_f32_e64 s1, 0x42b17218, v34
	s_wait_alu 0xf1ff
	v_cndmask_b32_e64 v34, 0x7f800000, v38, s1
	s_delay_alu instid0(VALU_DEP_1) | instskip(NEXT) | instid1(VALU_DEP_1)
	v_add_f32_e32 v33, v34, v33
	v_cmp_gt_f32_e64 s1, 0x800000, v33
	s_wait_alu 0xf1ff
	s_delay_alu instid0(VALU_DEP_1) | instskip(NEXT) | instid1(VALU_DEP_1)
	v_cndmask_b32_e64 v34, 0, 32, s1
	v_ldexp_f32 v33, v33, v34
	s_delay_alu instid0(VALU_DEP_1) | instskip(NEXT) | instid1(TRANS32_DEP_1)
	v_log_f32_e32 v33, v33
	v_mul_f32_e32 v34, 0x3f317217, v33
	v_cmp_gt_f32_e64 s3, 0x7f800000, |v33|
	s_delay_alu instid0(VALU_DEP_2) | instskip(NEXT) | instid1(VALU_DEP_1)
	v_fma_f32 v34, 0x3f317217, v33, -v34
	v_fmac_f32_e32 v34, 0x3377d1cf, v33
	s_delay_alu instid0(VALU_DEP_1) | instskip(SKIP_1) | instid1(VALU_DEP_1)
	v_fmac_f32_e32 v34, 0x3f317217, v33
	s_wait_alu 0xf1ff
	v_cndmask_b32_e64 v33, v33, v34, s3
	v_cndmask_b32_e64 v34, 0, 0x41b17218, s1
	s_delay_alu instid0(VALU_DEP_1) | instskip(NEXT) | instid1(VALU_DEP_1)
	v_sub_f32_e32 v33, v33, v34
	v_add_f32_e32 v33, v36, v33
	s_wait_loadcnt 0x0
	s_delay_alu instid0(VALU_DEP_1)
	v_add_f32_e32 v33, v37, v33
	s_or_b32 exec_lo, exec_lo, s40
	s_and_saveexec_b32 s3, s39
	s_cbranch_execz .LBB2_30
.LBB2_44:                               ;   in Loop: Header=BB2_31 Depth=2
	v_add_co_u32 v34, s1, v29, v7
	s_wait_alu 0xf1ff
	v_add_co_ci_u32_e64 v35, null, v30, v8, s1
	global_store_b32 v[34:35], v33, off
	s_branch .LBB2_30
.LBB2_45:
	s_mov_b32 s0, exec_lo
	s_wait_loadcnt 0x0
	s_wait_storecnt 0x0
	s_barrier_signal -1
	s_barrier_wait -1
	global_inv scope:SCOPE_SE
	v_cmpx_eq_u32_e32 0, v0
	s_cbranch_execz .LBB2_49
; %bb.46:
	v_add_co_u32 v0, vcc_lo, v5, -1
	s_wait_alu 0xfffd
	v_add_co_ci_u32_e64 v5, null, -1, v6, vcc_lo
	v_mul_lo_u32 v13, v3, s15
	s_delay_alu instid0(VALU_DEP_3) | instskip(SKIP_1) | instid1(VALU_DEP_4)
	v_mul_lo_u32 v12, v0, s13
	v_mad_co_u64_u32 v[9:10], null, v0, s12, 0
	v_mul_lo_u32 v11, v5, s12
	v_mul_lo_u32 v0, v4, s14
	v_mad_co_u64_u32 v[5:6], null, v3, s14, 0
	s_mov_b32 s1, exec_lo
	v_add3_u32 v10, v10, v12, v11
	v_add3_u32 v6, v6, v13, v0
	v_add_co_u32 v0, vcc_lo, s20, v7
	s_delay_alu instid0(VALU_DEP_3) | instskip(SKIP_3) | instid1(VALU_DEP_3)
	v_lshlrev_b64_e32 v[9:10], 2, v[9:10]
	s_wait_alu 0xfffd
	v_add_co_ci_u32_e64 v7, null, s21, v8, vcc_lo
	v_lshlrev_b64_e32 v[11:12], 3, v[5:6]
	v_add_co_u32 v8, vcc_lo, v0, v9
	s_wait_alu 0xfffd
	s_delay_alu instid0(VALU_DEP_3) | instskip(SKIP_1) | instid1(VALU_DEP_3)
	v_add_co_ci_u32_e64 v9, null, v7, v10, vcc_lo
	v_mov_b32_e32 v0, 0xff800000
	v_add_co_u32 v10, vcc_lo, v8, v11
	s_wait_alu 0xfffd
	s_delay_alu instid0(VALU_DEP_3)
	v_add_co_ci_u32_e64 v11, null, v9, v12, vcc_lo
	global_load_b32 v7, v[10:11], off
	v_cmpx_lt_i64_e32 0, v[3:4]
	s_cbranch_execz .LBB2_48
; %bb.47:
	v_lshlrev_b64_e32 v[3:4], 1, v[5:6]
	s_delay_alu instid0(VALU_DEP_1) | instskip(SKIP_1) | instid1(VALU_DEP_2)
	v_sub_co_u32 v3, vcc_lo, v3, s14
	s_wait_alu 0xfffd
	v_subrev_co_ci_u32_e64 v4, null, s15, v4, vcc_lo
	s_delay_alu instid0(VALU_DEP_1) | instskip(NEXT) | instid1(VALU_DEP_1)
	v_lshlrev_b64_e32 v[3:4], 2, v[3:4]
	v_add_co_u32 v3, vcc_lo, v8, v3
	s_wait_alu 0xfffd
	s_delay_alu instid0(VALU_DEP_2)
	v_add_co_ci_u32_e64 v4, null, v9, v4, vcc_lo
	global_load_b32 v0, v[3:4], off
.LBB2_48:
	s_wait_alu 0xfffe
	s_or_b32 exec_lo, exec_lo, s1
	s_wait_loadcnt 0x0
	v_cmp_gt_f32_e32 vcc_lo, v7, v0
	s_wait_alu 0xfffd
	v_cndmask_b32_e32 v3, v0, v7, vcc_lo
	s_delay_alu instid0(VALU_DEP_1) | instskip(SKIP_2) | instid1(VALU_DEP_1)
	v_cmp_neq_f32_e32 vcc_lo, 0xff800000, v3
	s_wait_alu 0xfffd
	v_cndmask_b32_e32 v3, 0, v3, vcc_lo
	v_sub_f32_e32 v0, v0, v3
	s_delay_alu instid0(VALU_DEP_1) | instskip(NEXT) | instid1(VALU_DEP_1)
	v_mul_f32_e32 v6, 0x3fb8aa3b, v0
	v_rndne_f32_e32 v10, v6
	v_fma_f32 v9, 0x3fb8aa3b, v0, -v6
	s_delay_alu instid0(VALU_DEP_2) | instskip(SKIP_1) | instid1(VALU_DEP_1)
	v_sub_f32_e32 v6, v6, v10
	v_sub_f32_e32 v4, v7, v3
	v_mul_f32_e32 v5, 0x3fb8aa3b, v4
	s_delay_alu instid0(VALU_DEP_4) | instskip(NEXT) | instid1(VALU_DEP_2)
	v_fmac_f32_e32 v9, 0x32a5705f, v0
	v_fma_f32 v7, 0x3fb8aa3b, v4, -v5
	v_rndne_f32_e32 v8, v5
	s_delay_alu instid0(VALU_DEP_1) | instskip(NEXT) | instid1(VALU_DEP_3)
	v_dual_add_f32 v6, v6, v9 :: v_dual_sub_f32 v5, v5, v8
	v_fmac_f32_e32 v7, 0x32a5705f, v4
	v_cmp_ngt_f32_e32 vcc_lo, 0xc2ce8ed0, v4
	s_delay_alu instid0(VALU_DEP_3) | instskip(NEXT) | instid1(VALU_DEP_2)
	v_exp_f32_e32 v6, v6
	v_add_f32_e32 v5, v5, v7
	v_cvt_i32_f32_e32 v7, v8
	v_cvt_i32_f32_e32 v8, v10
	s_delay_alu instid0(VALU_DEP_3)
	v_exp_f32_e32 v5, v5
	s_delay_alu instid0(TRANS32_DEP_2) | instid1(VALU_DEP_1)
	v_ldexp_f32 v6, v6, v8
	s_delay_alu instid0(TRANS32_DEP_1) | instskip(SKIP_1) | instid1(VALU_DEP_1)
	v_ldexp_f32 v5, v5, v7
	s_wait_alu 0xfffd
	v_cndmask_b32_e32 v5, 0, v5, vcc_lo
	v_cmp_ngt_f32_e32 vcc_lo, 0xc2ce8ed0, v0
	s_wait_alu 0xfffd
	v_cndmask_b32_e32 v6, 0, v6, vcc_lo
	v_cmp_nlt_f32_e32 vcc_lo, 0x42b17218, v4
	s_wait_alu 0xfffd
	v_cndmask_b32_e32 v4, 0x7f800000, v5, vcc_lo
	v_cmp_nlt_f32_e32 vcc_lo, 0x42b17218, v0
	s_wait_alu 0xfffd
	v_cndmask_b32_e32 v0, 0x7f800000, v6, vcc_lo
	s_delay_alu instid0(VALU_DEP_1) | instskip(NEXT) | instid1(VALU_DEP_1)
	v_add_f32_e32 v0, v4, v0
	v_cmp_gt_f32_e32 vcc_lo, 0x800000, v0
	s_wait_alu 0xfffd
	v_cndmask_b32_e64 v4, 0, 32, vcc_lo
	v_cndmask_b32_e64 v5, 0, 0x41b17218, vcc_lo
	s_delay_alu instid0(VALU_DEP_2) | instskip(NEXT) | instid1(VALU_DEP_1)
	v_ldexp_f32 v0, v0, v4
	v_log_f32_e32 v0, v0
	s_delay_alu instid0(TRANS32_DEP_1) | instskip(SKIP_1) | instid1(VALU_DEP_2)
	v_mul_f32_e32 v4, 0x3f317217, v0
	v_cmp_gt_f32_e64 vcc_lo, 0x7f800000, |v0|
	v_fma_f32 v4, 0x3f317217, v0, -v4
	s_delay_alu instid0(VALU_DEP_1) | instskip(NEXT) | instid1(VALU_DEP_1)
	v_fmamk_f32 v4, v0, 0x3377d1cf, v4
	v_fmac_f32_e32 v4, 0x3f317217, v0
	s_wait_alu 0xfffd
	s_delay_alu instid0(VALU_DEP_1) | instskip(NEXT) | instid1(VALU_DEP_1)
	v_cndmask_b32_e32 v0, v0, v4, vcc_lo
	v_sub_f32_e32 v0, v0, v5
	s_delay_alu instid0(VALU_DEP_1) | instskip(SKIP_1) | instid1(VALU_DEP_2)
	v_add_f32_e32 v3, v3, v0
	v_lshlrev_b64_e32 v[0:1], 2, v[1:2]
	v_xor_b32_e32 v2, 0x80000000, v3
	s_delay_alu instid0(VALU_DEP_2) | instskip(SKIP_1) | instid1(VALU_DEP_3)
	v_add_co_u32 v0, vcc_lo, s18, v0
	s_wait_alu 0xfffd
	v_add_co_ci_u32_e64 v1, null, s19, v1, vcc_lo
	global_store_b32 v[0:1], v2, off
.LBB2_49:
	s_wait_alu 0xfffe
	s_or_b32 exec_lo, exec_lo, s0
                                        ; implicit-def: $vgpr0
                                        ; implicit-def: $vgpr1_vgpr2
                                        ; implicit-def: $vgpr3_vgpr4
.LBB2_50:
	s_and_not1_saveexec_b32 s0, s33
	s_cbranch_execz .LBB2_53
; %bb.51:
	v_and_b32_e32 v0, 0x3ff, v0
	s_delay_alu instid0(VALU_DEP_1)
	v_cmp_eq_u32_e32 vcc_lo, 0, v0
	s_and_b32 exec_lo, exec_lo, vcc_lo
	s_cbranch_execz .LBB2_53
; %bb.52:
	v_lshlrev_b64_e32 v[0:1], 2, v[1:2]
	v_bfrev_b32_e32 v2, 1
	s_delay_alu instid0(VALU_DEP_2) | instskip(SKIP_1) | instid1(VALU_DEP_3)
	v_add_co_u32 v0, vcc_lo, s18, v0
	s_wait_alu 0xfffd
	v_add_co_ci_u32_e64 v1, null, s19, v1, vcc_lo
	s_wait_loadcnt 0x0
	v_cmp_eq_u64_e32 vcc_lo, 0, v[3:4]
	s_wait_alu 0xfffd
	v_cndmask_b32_e32 v2, 0x7f800000, v2, vcc_lo
	global_store_b32 v[0:1], v2, off
.LBB2_53:
	s_endpgm
	.section	.rodata,"a",@progbits
	.p2align	6, 0x0
	.amdhsa_kernel _ZN2at6native12_GLOBAL__N_129ctc_loss_log_alpha_gpu_kernelIflEEvPT_PKS3_PKllPKT0_S8_lS4_llllllS8_lll
		.amdhsa_group_segment_fixed_size 0
		.amdhsa_private_segment_fixed_size 0
		.amdhsa_kernarg_size 400
		.amdhsa_user_sgpr_count 2
		.amdhsa_user_sgpr_dispatch_ptr 0
		.amdhsa_user_sgpr_queue_ptr 0
		.amdhsa_user_sgpr_kernarg_segment_ptr 1
		.amdhsa_user_sgpr_dispatch_id 0
		.amdhsa_user_sgpr_private_segment_size 0
		.amdhsa_wavefront_size32 1
		.amdhsa_uses_dynamic_stack 0
		.amdhsa_enable_private_segment 0
		.amdhsa_system_sgpr_workgroup_id_x 1
		.amdhsa_system_sgpr_workgroup_id_y 1
		.amdhsa_system_sgpr_workgroup_id_z 0
		.amdhsa_system_sgpr_workgroup_info 0
		.amdhsa_system_vgpr_workitem_id 1
		.amdhsa_next_free_vgpr 47
		.amdhsa_next_free_sgpr 42
		.amdhsa_reserve_vcc 1
		.amdhsa_float_round_mode_32 0
		.amdhsa_float_round_mode_16_64 0
		.amdhsa_float_denorm_mode_32 3
		.amdhsa_float_denorm_mode_16_64 3
		.amdhsa_fp16_overflow 0
		.amdhsa_workgroup_processor_mode 1
		.amdhsa_memory_ordered 1
		.amdhsa_forward_progress 1
		.amdhsa_inst_pref_size 31
		.amdhsa_round_robin_scheduling 0
		.amdhsa_exception_fp_ieee_invalid_op 0
		.amdhsa_exception_fp_denorm_src 0
		.amdhsa_exception_fp_ieee_div_zero 0
		.amdhsa_exception_fp_ieee_overflow 0
		.amdhsa_exception_fp_ieee_underflow 0
		.amdhsa_exception_fp_ieee_inexact 0
		.amdhsa_exception_int_div_zero 0
	.end_amdhsa_kernel
	.section	.text._ZN2at6native12_GLOBAL__N_129ctc_loss_log_alpha_gpu_kernelIflEEvPT_PKS3_PKllPKT0_S8_lS4_llllllS8_lll,"axG",@progbits,_ZN2at6native12_GLOBAL__N_129ctc_loss_log_alpha_gpu_kernelIflEEvPT_PKS3_PKllPKT0_S8_lS4_llllllS8_lll,comdat
.Lfunc_end2:
	.size	_ZN2at6native12_GLOBAL__N_129ctc_loss_log_alpha_gpu_kernelIflEEvPT_PKS3_PKllPKT0_S8_lS4_llllllS8_lll, .Lfunc_end2-_ZN2at6native12_GLOBAL__N_129ctc_loss_log_alpha_gpu_kernelIflEEvPT_PKS3_PKllPKT0_S8_lS4_llllllS8_lll
                                        ; -- End function
	.set _ZN2at6native12_GLOBAL__N_129ctc_loss_log_alpha_gpu_kernelIflEEvPT_PKS3_PKllPKT0_S8_lS4_llllllS8_lll.num_vgpr, 47
	.set _ZN2at6native12_GLOBAL__N_129ctc_loss_log_alpha_gpu_kernelIflEEvPT_PKS3_PKllPKT0_S8_lS4_llllllS8_lll.num_agpr, 0
	.set _ZN2at6native12_GLOBAL__N_129ctc_loss_log_alpha_gpu_kernelIflEEvPT_PKS3_PKllPKT0_S8_lS4_llllllS8_lll.numbered_sgpr, 42
	.set _ZN2at6native12_GLOBAL__N_129ctc_loss_log_alpha_gpu_kernelIflEEvPT_PKS3_PKllPKT0_S8_lS4_llllllS8_lll.num_named_barrier, 0
	.set _ZN2at6native12_GLOBAL__N_129ctc_loss_log_alpha_gpu_kernelIflEEvPT_PKS3_PKllPKT0_S8_lS4_llllllS8_lll.private_seg_size, 0
	.set _ZN2at6native12_GLOBAL__N_129ctc_loss_log_alpha_gpu_kernelIflEEvPT_PKS3_PKllPKT0_S8_lS4_llllllS8_lll.uses_vcc, 1
	.set _ZN2at6native12_GLOBAL__N_129ctc_loss_log_alpha_gpu_kernelIflEEvPT_PKS3_PKllPKT0_S8_lS4_llllllS8_lll.uses_flat_scratch, 0
	.set _ZN2at6native12_GLOBAL__N_129ctc_loss_log_alpha_gpu_kernelIflEEvPT_PKS3_PKllPKT0_S8_lS4_llllllS8_lll.has_dyn_sized_stack, 0
	.set _ZN2at6native12_GLOBAL__N_129ctc_loss_log_alpha_gpu_kernelIflEEvPT_PKS3_PKllPKT0_S8_lS4_llllllS8_lll.has_recursion, 0
	.set _ZN2at6native12_GLOBAL__N_129ctc_loss_log_alpha_gpu_kernelIflEEvPT_PKS3_PKllPKT0_S8_lS4_llllllS8_lll.has_indirect_call, 0
	.section	.AMDGPU.csdata,"",@progbits
; Kernel info:
; codeLenInByte = 3936
; TotalNumSgprs: 44
; NumVgprs: 47
; ScratchSize: 0
; MemoryBound: 0
; FloatMode: 240
; IeeeMode: 1
; LDSByteSize: 0 bytes/workgroup (compile time only)
; SGPRBlocks: 0
; VGPRBlocks: 5
; NumSGPRsForWavesPerEU: 44
; NumVGPRsForWavesPerEU: 47
; Occupancy: 16
; WaveLimiterHint : 1
; COMPUTE_PGM_RSRC2:SCRATCH_EN: 0
; COMPUTE_PGM_RSRC2:USER_SGPR: 2
; COMPUTE_PGM_RSRC2:TRAP_HANDLER: 0
; COMPUTE_PGM_RSRC2:TGID_X_EN: 1
; COMPUTE_PGM_RSRC2:TGID_Y_EN: 1
; COMPUTE_PGM_RSRC2:TGID_Z_EN: 0
; COMPUTE_PGM_RSRC2:TIDIG_COMP_CNT: 1
	.section	.text._ZN2at6native12_GLOBAL__N_129ctc_loss_log_alpha_gpu_kernelIfiEEvPT_PKS3_PKllPKT0_S8_lS4_llllllS8_lll,"axG",@progbits,_ZN2at6native12_GLOBAL__N_129ctc_loss_log_alpha_gpu_kernelIfiEEvPT_PKS3_PKllPKT0_S8_lS4_llllllS8_lll,comdat
	.globl	_ZN2at6native12_GLOBAL__N_129ctc_loss_log_alpha_gpu_kernelIfiEEvPT_PKS3_PKllPKT0_S8_lS4_llllllS8_lll ; -- Begin function _ZN2at6native12_GLOBAL__N_129ctc_loss_log_alpha_gpu_kernelIfiEEvPT_PKS3_PKllPKT0_S8_lS4_llllllS8_lll
	.p2align	8
	.type	_ZN2at6native12_GLOBAL__N_129ctc_loss_log_alpha_gpu_kernelIfiEEvPT_PKS3_PKllPKT0_S8_lS4_llllllS8_lll,@function
_ZN2at6native12_GLOBAL__N_129ctc_loss_log_alpha_gpu_kernelIfiEEvPT_PKS3_PKllPKT0_S8_lS4_llllllS8_lll: ; @_ZN2at6native12_GLOBAL__N_129ctc_loss_log_alpha_gpu_kernelIfiEEvPT_PKS3_PKllPKT0_S8_lS4_llllllS8_lll
; %bb.0:
	s_clause 0x1
	s_load_u16 s2, s[0:1], 0x9e
	s_load_b128 s[16:19], s[0:1], 0x78
	v_bfe_u32 v1, v0, 10, 10
	s_wait_kmcnt 0x0
	s_delay_alu instid0(VALU_DEP_1) | instskip(SKIP_2) | instid1(VALU_DEP_1)
	v_mad_co_u64_u32 v[1:2], null, ttmp7, s2, v[1:2]
	v_mov_b32_e32 v2, 0
	s_mov_b32 s2, exec_lo
	v_cmpx_gt_i64_e64 s[18:19], v[1:2]
	s_cbranch_execz .LBB3_53
; %bb.1:
	s_clause 0x1
	s_load_b64 s[2:3], s[0:1], 0x10
	s_load_b64 s[4:5], s[0:1], 0x28
	v_lshlrev_b64_e32 v[7:8], 3, v[1:2]
	s_load_b64 s[18:19], s[0:1], 0x38
	s_wait_kmcnt 0x0
	s_delay_alu instid0(VALU_DEP_1) | instskip(NEXT) | instid1(VALU_DEP_1)
	v_add_co_u32 v3, vcc_lo, s2, v7
	v_add_co_ci_u32_e64 v4, null, s3, v8, vcc_lo
	s_mov_b32 s2, exec_lo
	global_load_b64 v[5:6], v[3:4], off
	v_add_co_u32 v3, vcc_lo, s4, v7
	s_wait_alu 0xfffd
	v_add_co_ci_u32_e64 v4, null, s5, v8, vcc_lo
	global_load_b64 v[3:4], v[3:4], off
	s_wait_loadcnt 0x1
	v_cmpx_ne_u64_e32 0, v[5:6]
	s_wait_alu 0xfffe
	s_xor_b32 s33, exec_lo, s2
	s_cbranch_execz .LBB3_50
; %bb.2:
	s_clause 0x3
	s_load_b64 s[2:3], s[0:1], 0x70
	s_load_b128 s[12:15], s[0:1], 0x60
	s_load_b256 s[4:11], s[0:1], 0x40
	s_load_b64 s[24:25], s[0:1], 0x88
	v_and_b32_e32 v0, 0x3ff, v0
	s_add_nc_u64 s[26:27], s[0:1], 0x90
	s_wait_kmcnt 0x0
	v_add_co_u32 v7, vcc_lo, s2, v7
	s_wait_alu 0xfffd
	v_add_co_ci_u32_e64 v8, null, s3, v8, vcc_lo
	v_mad_co_u64_u32 v[13:14], null, s10, v1, 0
	v_mad_co_u64_u32 v[9:10], null, s6, v1, 0
	global_load_b64 v[7:8], v[7:8], off
	s_clause 0x2
	s_load_b64 s[30:31], s[0:1], 0x30
	s_load_b128 s[20:23], s[0:1], 0x0
	s_load_b64 s[28:29], s[0:1], 0x20
	v_mov_b32_e32 v11, v14
	s_delay_alu instid0(VALU_DEP_1) | instskip(NEXT) | instid1(VALU_DEP_1)
	v_mad_co_u64_u32 v[14:15], null, s7, v1, v[10:11]
	v_mov_b32_e32 v10, v14
	v_mad_co_u64_u32 v[11:12], null, s11, v1, v[11:12]
	s_wait_kmcnt 0x0
	v_cmp_gt_i64_e64 s3, s[30:31], -1
	s_lshl_b64 s[6:7], s[30:31], 1
	v_lshlrev_b64_e32 v[19:20], 2, v[9:10]
	v_mov_b32_e32 v14, v11
	s_and_b32 vcc_lo, exec_lo, s3
	s_wait_loadcnt 0x0
	v_lshlrev_b64_e32 v[11:12], 2, v[7:8]
	s_delay_alu instid0(VALU_DEP_2)
	v_lshlrev_b64_e32 v[7:8], 2, v[13:14]
	s_wait_alu 0xfffe
	s_cbranch_vccz .LBB3_17
; %bb.3:
	v_mad_co_u64_u32 v[13:14], null, s14, v0, 0
	s_load_b32 s10, s[26:27], 0xc
	s_mul_u64 s[30:31], s[24:25], s[8:9]
	s_mov_b32 s11, 0
	s_wait_alu 0xfffe
	s_lshl_b64 s[30:31], s[30:31], 2
	v_cmp_ne_u64_e64 s2, 0, v[3:4]
	v_mov_b32_e32 v9, v14
	s_delay_alu instid0(VALU_DEP_1) | instskip(SKIP_4) | instid1(VALU_DEP_4)
	v_mad_co_u64_u32 v[14:15], null, s15, v0, v[9:10]
	v_add_co_u32 v9, vcc_lo, s28, v11
	s_wait_alu 0xfffd
	v_add_co_ci_u32_e64 v10, null, s29, v12, vcc_lo
	v_add_co_u32 v21, vcc_lo, s22, v19
	v_lshlrev_b64_e32 v[15:16], 2, v[13:14]
	s_wait_alu 0xfffd
	v_add_co_ci_u32_e64 v22, null, s23, v20, vcc_lo
	s_wait_alu 0xfffe
	v_add_co_u32 v13, vcc_lo, v21, s30
	s_wait_kmcnt 0x0
	s_and_b32 s10, s10, 0xffff
	s_wait_alu 0xfffd
	v_add_co_ci_u32_e64 v14, null, s31, v22, vcc_lo
	v_add_co_u32 v15, vcc_lo, v15, v7
	s_wait_alu 0xfffd
	v_add_co_ci_u32_e64 v16, null, v16, v8, vcc_lo
	s_wait_alu 0xfffe
	s_mul_u64 s[34:35], s[14:15], s[10:11]
	v_add_co_u32 v15, vcc_lo, s20, v15
	s_wait_alu 0xfffd
	v_add_co_ci_u32_e64 v16, null, s21, v16, vcc_lo
	s_mov_b64 s[30:31], 0
	s_lshl_b64 s[34:35], s[34:35], 2
	s_branch .LBB3_5
.LBB3_4:                                ;   in Loop: Header=BB3_5 Depth=1
	s_wait_alu 0xfffe
	s_or_b32 exec_lo, exec_lo, s36
	s_add_nc_u64 s[30:31], s[30:31], s[10:11]
	v_add_co_u32 v15, vcc_lo, v15, s34
	s_wait_alu 0xfffe
	v_cmp_gt_i64_e64 s36, s[30:31], s[6:7]
	s_wait_alu 0xfffd
	v_add_co_ci_u32_e64 v16, null, s35, v16, vcc_lo
	s_and_b32 vcc_lo, exec_lo, s36
	s_wait_alu 0xfffe
	s_cbranch_vccnz .LBB3_17
.LBB3_5:                                ; =>This Inner Loop Header: Depth=1
	s_wait_alu 0xfffe
	v_add_co_u32 v17, s36, v0, s30
	s_wait_alu 0xf1ff
	v_add_co_ci_u32_e64 v18, null, 0, s31, s36
	s_mov_b32 s36, exec_lo
                                        ; implicit-def: $vgpr23
	v_cmpx_lt_i64_e32 0, v[17:18]
	s_wait_alu 0xfffe
	s_xor_b32 s36, exec_lo, s36
	s_cbranch_execnz .LBB3_8
; %bb.6:                                ;   in Loop: Header=BB3_5 Depth=1
	s_wait_alu 0xfffe
	s_and_not1_saveexec_b32 s36, s36
	s_cbranch_execnz .LBB3_13
.LBB3_7:                                ;   in Loop: Header=BB3_5 Depth=1
	s_wait_alu 0xfffe
	s_or_b32 exec_lo, exec_lo, s36
	s_delay_alu instid0(SALU_CYCLE_1)
	s_mov_b32 s36, exec_lo
	v_cmpx_ge_i64_e64 s[6:7], v[17:18]
	s_cbranch_execz .LBB3_4
	s_branch .LBB3_16
.LBB3_8:                                ;   in Loop: Header=BB3_5 Depth=1
	s_wait_loadcnt 0x0
	v_mov_b32_e32 v23, 0xff800000
	s_mov_b32 s37, exec_lo
	v_cmpx_eq_u64_e32 1, v[17:18]
	s_cbranch_execz .LBB3_12
; %bb.9:                                ;   in Loop: Header=BB3_5 Depth=1
	v_mov_b32_e32 v23, 0xff800000
	s_and_saveexec_b32 s38, s2
	s_cbranch_execz .LBB3_11
; %bb.10:                               ;   in Loop: Header=BB3_5 Depth=1
	global_load_b32 v23, v[9:10], off
	s_wait_loadcnt 0x0
	v_ashrrev_i32_e32 v25, 31, v23
	v_mul_lo_u32 v26, s9, v23
	v_mad_co_u64_u32 v[23:24], null, s8, v23, 0
	s_delay_alu instid0(VALU_DEP_3) | instskip(NEXT) | instid1(VALU_DEP_1)
	v_mul_lo_u32 v25, s8, v25
	v_add3_u32 v24, v24, v25, v26
	s_delay_alu instid0(VALU_DEP_1) | instskip(NEXT) | instid1(VALU_DEP_1)
	v_lshlrev_b64_e32 v[23:24], 2, v[23:24]
	v_add_co_u32 v23, vcc_lo, v21, v23
	s_wait_alu 0xfffd
	s_delay_alu instid0(VALU_DEP_2)
	v_add_co_ci_u32_e64 v24, null, v22, v24, vcc_lo
	global_load_b32 v23, v[23:24], off
.LBB3_11:                               ;   in Loop: Header=BB3_5 Depth=1
	s_or_b32 exec_lo, exec_lo, s38
.LBB3_12:                               ;   in Loop: Header=BB3_5 Depth=1
	s_wait_alu 0xfffe
	s_or_b32 exec_lo, exec_lo, s37
	s_and_not1_saveexec_b32 s36, s36
	s_cbranch_execz .LBB3_7
.LBB3_13:                               ;   in Loop: Header=BB3_5 Depth=1
	s_wait_loadcnt 0x0
	v_mov_b32_e32 v23, 0xff800000
	s_mov_b32 s37, exec_lo
	v_cmpx_eq_u64_e32 0, v[17:18]
	s_cbranch_execz .LBB3_15
; %bb.14:                               ;   in Loop: Header=BB3_5 Depth=1
	global_load_b32 v23, v[13:14], off
.LBB3_15:                               ;   in Loop: Header=BB3_5 Depth=1
	s_wait_alu 0xfffe
	s_or_b32 exec_lo, exec_lo, s37
	s_delay_alu instid0(SALU_CYCLE_1) | instskip(NEXT) | instid1(SALU_CYCLE_1)
	s_or_b32 exec_lo, exec_lo, s36
	s_mov_b32 s36, exec_lo
	v_cmpx_ge_i64_e64 s[6:7], v[17:18]
	s_cbranch_execz .LBB3_4
.LBB3_16:                               ;   in Loop: Header=BB3_5 Depth=1
	s_wait_loadcnt 0x0
	global_store_b32 v[15:16], v23, off
	s_branch .LBB3_4
.LBB3_17:
	v_cmp_lt_i64_e64 s2, 0, v[3:4]
	s_and_not1_b32 vcc_lo, exec_lo, s3
	s_wait_alu 0xfffe
	s_cbranch_vccnz .LBB3_45
; %bb.18:
	s_load_b64 s[10:11], s[0:1], 0x18
	s_load_b32 s0, s[26:27], 0xc
	v_add_co_u32 v16, s1, v0, -2
	s_wait_alu 0xf1ff
	v_add_co_ci_u32_e64 v17, null, 0, -1, s1
	v_mad_co_u64_u32 v[13:14], null, s14, v0, 0
	v_add_co_u32 v31, vcc_lo, s28, v11
	s_wait_alu 0xfffd
	v_add_co_ci_u32_e64 v32, null, s29, v12, vcc_lo
	v_mul_lo_u32 v12, s14, v17
	v_mul_lo_u32 v11, s15, v16
	v_mad_co_u64_u32 v[14:15], null, s15, v0, v[14:15]
	v_mad_co_u64_u32 v[15:16], null, s14, v16, 0
	s_lshl_b64 s[28:29], s[12:13], 2
	s_lshl_b64 s[4:5], s[4:5], 2
	s_mov_b32 s27, 0
	s_wait_kmcnt 0x0
	s_and_b32 s26, s0, 0xffff
	v_add_co_u32 v17, s0, v0, -1
	s_wait_alu 0xf1ff
	v_add_co_ci_u32_e64 v18, null, 0, -1, s0
	v_add3_u32 v16, v16, v12, v11
	s_delay_alu instid0(VALU_DEP_3) | instskip(SKIP_1) | instid1(VALU_DEP_4)
	v_mul_lo_u32 v21, s15, v17
	v_lshlrev_b64_e32 v[13:14], 2, v[13:14]
	v_mul_lo_u32 v22, s14, v18
	v_mad_co_u64_u32 v[17:18], null, s14, v17, 0
	s_wait_alu 0xfffe
	s_add_nc_u64 s[0:1], s[20:21], s[28:29]
	v_lshlrev_b64_e32 v[15:16], 2, v[15:16]
	s_wait_alu 0xfffe
	v_add_co_u32 v11, vcc_lo, s0, v13
	s_wait_alu 0xfffd
	v_add_co_ci_u32_e64 v12, null, s1, v14, vcc_lo
	v_add3_u32 v18, v18, v22, v21
	v_add_co_u32 v13, vcc_lo, s20, v13
	s_wait_alu 0xfffd
	v_add_co_ci_u32_e64 v14, null, s21, v14, vcc_lo
	s_delay_alu instid0(VALU_DEP_3)
	v_lshlrev_b64_e32 v[17:18], 2, v[17:18]
	v_add_co_u32 v15, vcc_lo, s20, v15
	s_wait_alu 0xfffd
	v_add_co_ci_u32_e64 v16, null, s21, v16, vcc_lo
	s_add_nc_u64 s[22:23], s[22:23], s[4:5]
	v_add_co_u32 v17, vcc_lo, s20, v17
	s_wait_alu 0xfffd
	v_add_co_ci_u32_e64 v18, null, s21, v18, vcc_lo
	s_wait_alu 0xfffe
	v_add_co_u32 v19, vcc_lo, s22, v19
	v_lshlrev_b64_e32 v[9:10], 1, v[3:4]
	v_cmp_gt_i64_e64 s36, s[10:11], 1
	s_wait_alu 0xfffd
	v_add_co_ci_u32_e64 v20, null, s23, v20, vcc_lo
	s_mul_u64 s[0:1], s[14:15], s[26:27]
	s_mov_b64 s[22:23], 0
	s_wait_alu 0xfffe
	s_lshl_b64 s[30:31], s[0:1], 2
	s_lshl_b64 s[8:9], s[8:9], 2
	s_branch .LBB3_20
.LBB3_19:                               ;   in Loop: Header=BB3_20 Depth=1
	v_add_co_u32 v11, vcc_lo, v11, s30
	s_wait_alu 0xfffd
	v_add_co_ci_u32_e64 v12, null, s31, v12, vcc_lo
	v_add_co_u32 v13, vcc_lo, v13, s30
	s_add_nc_u64 s[22:23], s[22:23], s[26:27]
	s_wait_alu 0xfffd
	v_add_co_ci_u32_e64 v14, null, s31, v14, vcc_lo
	v_add_co_u32 v15, vcc_lo, v15, s30
	s_wait_alu 0xfffe
	v_cmp_gt_i64_e64 s0, s[22:23], s[6:7]
	s_wait_alu 0xfffd
	v_add_co_ci_u32_e64 v16, null, s31, v16, vcc_lo
	v_add_co_u32 v17, vcc_lo, v17, s30
	s_wait_alu 0xfffd
	v_add_co_ci_u32_e64 v18, null, s31, v18, vcc_lo
	s_and_b32 vcc_lo, exec_lo, s0
	s_wait_alu 0xfffe
	s_cbranch_vccnz .LBB3_45
.LBB3_20:                               ; =>This Loop Header: Depth=1
                                        ;     Child Loop BB3_31 Depth 2
	s_wait_loadcnt 0x0
	v_add_co_u32 v23, s0, s22, v0
	s_wait_alu 0xf1ff
	v_add_co_ci_u32_e64 v24, null, s23, 0, s0
	v_dual_mov_b32 v26, s25 :: v_dual_mov_b32 v25, s24
	s_mov_b32 s37, 0
	s_delay_alu instid0(VALU_DEP_2)
	v_cmp_le_i64_e64 s1, v[23:24], v[9:10]
	s_and_b32 s0, s2, s1
	s_wait_alu 0xfffe
	s_and_saveexec_b32 s3, s0
	s_cbranch_execz .LBB3_28
; %bb.21:                               ;   in Loop: Header=BB3_20 Depth=1
	v_dual_mov_b32 v26, s25 :: v_dual_and_b32 v21, 1, v23
	v_mov_b32_e32 v25, s24
	s_delay_alu instid0(VALU_DEP_2)
	v_cmp_eq_u32_e32 vcc_lo, 1, v21
	s_and_saveexec_b32 s34, vcc_lo
	s_cbranch_execz .LBB3_23
; %bb.22:                               ;   in Loop: Header=BB3_20 Depth=1
	v_alignbit_b32 v21, v24, v23, 1
	v_lshrrev_b32_e32 v25, 1, v24
	s_delay_alu instid0(VALU_DEP_2) | instskip(SKIP_1) | instid1(VALU_DEP_3)
	v_mul_lo_u32 v26, v21, s17
	v_mad_co_u64_u32 v[21:22], null, v21, s16, 0
	v_mul_lo_u32 v25, v25, s16
	s_delay_alu instid0(VALU_DEP_1) | instskip(NEXT) | instid1(VALU_DEP_1)
	v_add3_u32 v22, v22, v26, v25
	v_lshlrev_b64_e32 v[21:22], 2, v[21:22]
	s_delay_alu instid0(VALU_DEP_1) | instskip(SKIP_1) | instid1(VALU_DEP_2)
	v_add_co_u32 v21, s0, v31, v21
	s_wait_alu 0xf1ff
	v_add_co_ci_u32_e64 v22, null, v32, v22, s0
	global_load_b32 v25, v[21:22], off
	s_wait_loadcnt 0x0
	v_ashrrev_i32_e32 v26, 31, v25
.LBB3_23:                               ;   in Loop: Header=BB3_20 Depth=1
	s_wait_alu 0xfffe
	s_or_b32 exec_lo, exec_lo, s34
	s_mov_b32 s35, 0
	s_mov_b32 s34, exec_lo
	v_cmpx_lt_u64_e32 1, v[23:24]
	s_cbranch_execz .LBB3_27
; %bb.24:                               ;   in Loop: Header=BB3_20 Depth=1
	v_dual_mov_b32 v21, s24 :: v_dual_mov_b32 v22, s25
	s_and_saveexec_b32 s0, vcc_lo
	s_cbranch_execz .LBB3_26
; %bb.25:                               ;   in Loop: Header=BB3_20 Depth=1
	v_add_co_u32 v21, vcc_lo, v23, -2
	s_wait_alu 0xfffd
	v_add_co_ci_u32_e64 v22, null, -1, v24, vcc_lo
	s_delay_alu instid0(VALU_DEP_1) | instskip(NEXT) | instid1(VALU_DEP_1)
	v_lshrrev_b32_e32 v27, 31, v22
	v_add_co_u32 v21, vcc_lo, v21, v27
	s_wait_alu 0xfffd
	v_add_co_ci_u32_e64 v22, null, 0, v22, vcc_lo
	s_delay_alu instid0(VALU_DEP_1) | instskip(NEXT) | instid1(VALU_DEP_1)
	v_ashrrev_i64 v[21:22], 1, v[21:22]
	v_mul_lo_u32 v27, v22, s16
	s_delay_alu instid0(VALU_DEP_2) | instskip(SKIP_1) | instid1(VALU_DEP_1)
	v_mul_lo_u32 v28, v21, s17
	v_mad_co_u64_u32 v[21:22], null, v21, s16, 0
	v_add3_u32 v22, v22, v28, v27
	s_delay_alu instid0(VALU_DEP_1) | instskip(NEXT) | instid1(VALU_DEP_1)
	v_lshlrev_b64_e32 v[21:22], 2, v[21:22]
	v_add_co_u32 v21, vcc_lo, v31, v21
	s_wait_alu 0xfffd
	s_delay_alu instid0(VALU_DEP_2)
	v_add_co_ci_u32_e64 v22, null, v32, v22, vcc_lo
	global_load_b32 v21, v[21:22], off
	s_wait_loadcnt 0x0
	v_ashrrev_i32_e32 v22, 31, v21
.LBB3_26:                               ;   in Loop: Header=BB3_20 Depth=1
	s_wait_alu 0xfffe
	s_or_b32 exec_lo, exec_lo, s0
	s_delay_alu instid0(VALU_DEP_1)
	v_cmp_ne_u64_e32 vcc_lo, v[21:22], v[25:26]
	s_and_b32 s35, vcc_lo, exec_lo
.LBB3_27:                               ;   in Loop: Header=BB3_20 Depth=1
	s_wait_alu 0xfffe
	s_or_b32 exec_lo, exec_lo, s34
	s_delay_alu instid0(SALU_CYCLE_1)
	s_and_b32 s37, s35, exec_lo
.LBB3_28:                               ;   in Loop: Header=BB3_20 Depth=1
	s_wait_alu 0xfffe
	s_or_b32 exec_lo, exec_lo, s3
	s_delay_alu instid0(SALU_CYCLE_1)
	s_and_not1_b32 vcc_lo, exec_lo, s36
	s_wait_alu 0xfffe
	s_cbranch_vccnz .LBB3_19
; %bb.29:                               ;   in Loop: Header=BB3_20 Depth=1
	v_mad_co_u64_u32 v[21:22], null, s8, v25, v[19:20]
	v_mul_lo_u32 v27, s8, v26
	v_mul_lo_u32 v28, s9, v25
	v_cmp_ne_u64_e64 s0, 0, v[23:24]
	v_cmp_ge_i64_e32 vcc_lo, s[6:7], v[23:24]
	v_dual_mov_b32 v24, v18 :: v_dual_mov_b32 v23, v17
	v_dual_mov_b32 v26, v16 :: v_dual_mov_b32 v25, v15
	;; [unrolled: 1-line block ×3, first 2 shown]
	v_add3_u32 v22, v28, v22, v27
	v_dual_mov_b32 v28, v14 :: v_dual_mov_b32 v27, v13
	s_mov_b64 s[34:35], 1
	s_xor_b32 s38, s1, -1
	s_branch .LBB3_31
.LBB3_30:                               ;   in Loop: Header=BB3_31 Depth=2
	s_wait_alu 0xfffe
	s_or_b32 exec_lo, exec_lo, s3
	v_add_co_u32 v29, s1, v29, s28
	s_wait_alu 0xf1ff
	v_add_co_ci_u32_e64 v30, null, s29, v30, s1
	v_add_co_u32 v27, s1, v27, s28
	s_wait_alu 0xf1ff
	v_add_co_ci_u32_e64 v28, null, s29, v28, s1
	;; [unrolled: 3-line block ×5, first 2 shown]
	s_add_nc_u64 s[34:35], s[34:35], 1
	s_wait_alu 0xfffe
	s_cmp_eq_u64 s[10:11], s[34:35]
	s_cbranch_scc1 .LBB3_19
.LBB3_31:                               ;   Parent Loop BB3_20 Depth=1
                                        ; =>  This Inner Loop Header: Depth=2
	s_wait_alu 0xfffe
	v_cmp_ge_i64_e64 s1, s[34:35], v[5:6]
	s_mov_b32 s39, 0
	s_wait_storecnt 0x0
	s_barrier_signal -1
	s_barrier_wait -1
	global_inv scope:SCOPE_SE
	s_or_b32 s1, s38, s1
	s_wait_alu 0xfffe
	s_and_saveexec_b32 s3, s1
	s_wait_alu 0xfffe
	s_xor_b32 s1, exec_lo, s3
	s_cbranch_execnz .LBB3_34
; %bb.32:                               ;   in Loop: Header=BB3_31 Depth=2
	s_wait_alu 0xfffe
	s_or_saveexec_b32 s40, s1
	v_mov_b32_e32 v33, 0xff800000
	s_xor_b32 exec_lo, exec_lo, s40
	s_cbranch_execnz .LBB3_35
.LBB3_33:                               ;   in Loop: Header=BB3_31 Depth=2
	s_or_b32 exec_lo, exec_lo, s40
	s_and_saveexec_b32 s3, s39
	s_cbranch_execz .LBB3_30
	s_branch .LBB3_44
.LBB3_34:                               ;   in Loop: Header=BB3_31 Depth=2
	s_and_b32 s39, vcc_lo, exec_lo
	s_wait_alu 0xfffe
	s_or_saveexec_b32 s40, s1
	v_mov_b32_e32 v33, 0xff800000
	s_xor_b32 exec_lo, exec_lo, s40
	s_cbranch_execz .LBB3_33
.LBB3_35:                               ;   in Loop: Header=BB3_31 Depth=2
	v_add_co_u32 v33, s1, v27, v7
	s_wait_alu 0xf1ff
	v_add_co_ci_u32_e64 v34, null, v28, v8, s1
	v_mov_b32_e32 v35, 0xff800000
	global_load_b32 v33, v[33:34], off
	v_mov_b32_e32 v34, 0xff800000
	s_wait_loadcnt 0x0
	v_mov_b32_e32 v36, v33
	s_and_saveexec_b32 s3, s0
	s_cbranch_execz .LBB3_39
; %bb.36:                               ;   in Loop: Header=BB3_31 Depth=2
	v_add_co_u32 v35, s1, v23, v7
	s_wait_alu 0xf1ff
	v_add_co_ci_u32_e64 v36, null, v24, v8, s1
	s_mov_b32 s41, exec_lo
	global_load_b32 v35, v[35:36], off
	v_mov_b32_e32 v36, v33
	s_wait_loadcnt 0x0
	v_cmpx_gt_f32_e32 v35, v33
; %bb.37:                               ;   in Loop: Header=BB3_31 Depth=2
	v_mov_b32_e32 v36, v35
; %bb.38:                               ;   in Loop: Header=BB3_31 Depth=2
	s_or_b32 exec_lo, exec_lo, s41
.LBB3_39:                               ;   in Loop: Header=BB3_31 Depth=2
	s_wait_alu 0xfffe
	s_or_b32 exec_lo, exec_lo, s3
	s_and_saveexec_b32 s3, s37
	s_cbranch_execz .LBB3_43
; %bb.40:                               ;   in Loop: Header=BB3_31 Depth=2
	v_add_co_u32 v37, s1, v25, v7
	s_wait_alu 0xf1ff
	v_add_co_ci_u32_e64 v38, null, v26, v8, s1
	s_mov_b32 s41, exec_lo
	global_load_b32 v34, v[37:38], off
	s_wait_loadcnt 0x0
	v_cmpx_gt_f32_e32 v34, v36
; %bb.41:                               ;   in Loop: Header=BB3_31 Depth=2
	v_mov_b32_e32 v36, v34
; %bb.42:                               ;   in Loop: Header=BB3_31 Depth=2
	s_or_b32 exec_lo, exec_lo, s41
.LBB3_43:                               ;   in Loop: Header=BB3_31 Depth=2
	s_wait_alu 0xfffe
	s_or_b32 exec_lo, exec_lo, s3
	global_load_b32 v37, v[21:22], off
	v_cmp_neq_f32_e64 s1, 0xff800000, v36
	s_or_b32 s39, s39, exec_lo
	s_wait_alu 0xf1ff
	v_cndmask_b32_e64 v36, 0, v36, s1
	s_delay_alu instid0(VALU_DEP_1) | instskip(NEXT) | instid1(VALU_DEP_1)
	v_sub_f32_e32 v34, v34, v36
	v_dual_sub_f32 v33, v33, v36 :: v_dual_mul_f32 v44, 0x3fb8aa3b, v34
	s_delay_alu instid0(VALU_DEP_1) | instskip(SKIP_1) | instid1(VALU_DEP_3)
	v_dual_sub_f32 v35, v35, v36 :: v_dual_mul_f32 v38, 0x3fb8aa3b, v33
	v_cmp_ngt_f32_e64 s1, 0xc2ce8ed0, v33
	v_rndne_f32_e32 v46, v44
	s_delay_alu instid0(VALU_DEP_3) | instskip(NEXT) | instid1(VALU_DEP_4)
	v_rndne_f32_e32 v41, v38
	v_mul_f32_e32 v39, 0x3fb8aa3b, v35
	v_fma_f32 v40, 0x3fb8aa3b, v33, -v38
	s_delay_alu instid0(VALU_DEP_3) | instskip(NEXT) | instid1(VALU_DEP_3)
	v_sub_f32_e32 v38, v38, v41
	v_rndne_f32_e32 v43, v39
	v_fma_f32 v42, 0x3fb8aa3b, v35, -v39
	v_cvt_i32_f32_e32 v41, v41
	s_delay_alu instid0(VALU_DEP_3) | instskip(SKIP_1) | instid1(VALU_DEP_1)
	v_sub_f32_e32 v39, v39, v43
	v_fma_f32 v45, 0x3fb8aa3b, v34, -v44
	v_dual_fmac_f32 v42, 0x32a5705f, v35 :: v_dual_fmac_f32 v45, 0x32a5705f, v34
	s_delay_alu instid0(VALU_DEP_1) | instskip(SKIP_1) | instid1(VALU_DEP_2)
	v_dual_fmac_f32 v40, 0x32a5705f, v33 :: v_dual_add_f32 v39, v39, v42
	v_cvt_i32_f32_e32 v42, v43
	v_add_f32_e32 v38, v38, v40
	s_delay_alu instid0(VALU_DEP_3) | instskip(NEXT) | instid1(VALU_DEP_1)
	v_exp_f32_e32 v39, v39
	v_exp_f32_e32 v38, v38
	s_delay_alu instid0(TRANS32_DEP_2) | instskip(NEXT) | instid1(TRANS32_DEP_1)
	v_ldexp_f32 v39, v39, v42
	v_ldexp_f32 v38, v38, v41
	v_cvt_i32_f32_e32 v41, v46
	s_wait_alu 0xf1ff
	s_delay_alu instid0(VALU_DEP_2) | instskip(SKIP_2) | instid1(VALU_DEP_1)
	v_cndmask_b32_e64 v38, 0, v38, s1
	v_cmp_ngt_f32_e64 s1, 0xc2ce8ed0, v35
	s_wait_alu 0xf1ff
	v_cndmask_b32_e64 v39, 0, v39, s1
	v_cmp_nlt_f32_e64 s1, 0x42b17218, v33
	s_wait_alu 0xf1ff
	s_delay_alu instid0(VALU_DEP_1) | instskip(SKIP_2) | instid1(VALU_DEP_1)
	v_cndmask_b32_e64 v33, 0x7f800000, v38, s1
	v_cmp_nlt_f32_e64 s1, 0x42b17218, v35
	s_wait_alu 0xf1ff
	v_cndmask_b32_e64 v35, 0x7f800000, v39, s1
	v_cmp_ngt_f32_e64 s1, 0xc2ce8ed0, v34
	s_delay_alu instid0(VALU_DEP_2) | instskip(NEXT) | instid1(VALU_DEP_1)
	v_dual_add_f32 v33, v33, v35 :: v_dual_sub_f32 v40, v44, v46
	v_add_f32_e32 v40, v40, v45
	s_delay_alu instid0(VALU_DEP_1) | instskip(NEXT) | instid1(TRANS32_DEP_1)
	v_exp_f32_e32 v40, v40
	v_ldexp_f32 v40, v40, v41
	s_wait_alu 0xf1ff
	s_delay_alu instid0(VALU_DEP_1) | instskip(SKIP_2) | instid1(VALU_DEP_1)
	v_cndmask_b32_e64 v38, 0, v40, s1
	v_cmp_nlt_f32_e64 s1, 0x42b17218, v34
	s_wait_alu 0xf1ff
	v_cndmask_b32_e64 v34, 0x7f800000, v38, s1
	s_delay_alu instid0(VALU_DEP_1) | instskip(NEXT) | instid1(VALU_DEP_1)
	v_add_f32_e32 v33, v34, v33
	v_cmp_gt_f32_e64 s1, 0x800000, v33
	s_wait_alu 0xf1ff
	s_delay_alu instid0(VALU_DEP_1) | instskip(NEXT) | instid1(VALU_DEP_1)
	v_cndmask_b32_e64 v34, 0, 32, s1
	v_ldexp_f32 v33, v33, v34
	s_delay_alu instid0(VALU_DEP_1) | instskip(NEXT) | instid1(TRANS32_DEP_1)
	v_log_f32_e32 v33, v33
	v_mul_f32_e32 v34, 0x3f317217, v33
	v_cmp_gt_f32_e64 s3, 0x7f800000, |v33|
	s_delay_alu instid0(VALU_DEP_2) | instskip(NEXT) | instid1(VALU_DEP_1)
	v_fma_f32 v34, 0x3f317217, v33, -v34
	v_fmac_f32_e32 v34, 0x3377d1cf, v33
	s_delay_alu instid0(VALU_DEP_1) | instskip(SKIP_1) | instid1(VALU_DEP_1)
	v_fmac_f32_e32 v34, 0x3f317217, v33
	s_wait_alu 0xf1ff
	v_cndmask_b32_e64 v33, v33, v34, s3
	v_cndmask_b32_e64 v34, 0, 0x41b17218, s1
	s_delay_alu instid0(VALU_DEP_1) | instskip(NEXT) | instid1(VALU_DEP_1)
	v_sub_f32_e32 v33, v33, v34
	v_add_f32_e32 v33, v36, v33
	s_wait_loadcnt 0x0
	s_delay_alu instid0(VALU_DEP_1)
	v_add_f32_e32 v33, v37, v33
	s_or_b32 exec_lo, exec_lo, s40
	s_and_saveexec_b32 s3, s39
	s_cbranch_execz .LBB3_30
.LBB3_44:                               ;   in Loop: Header=BB3_31 Depth=2
	v_add_co_u32 v34, s1, v29, v7
	s_wait_alu 0xf1ff
	v_add_co_ci_u32_e64 v35, null, v30, v8, s1
	global_store_b32 v[34:35], v33, off
	s_branch .LBB3_30
.LBB3_45:
	s_mov_b32 s0, exec_lo
	s_wait_loadcnt 0x0
	s_wait_storecnt 0x0
	s_barrier_signal -1
	s_barrier_wait -1
	global_inv scope:SCOPE_SE
	v_cmpx_eq_u32_e32 0, v0
	s_cbranch_execz .LBB3_49
; %bb.46:
	v_add_co_u32 v0, vcc_lo, v5, -1
	s_wait_alu 0xfffd
	v_add_co_ci_u32_e64 v5, null, -1, v6, vcc_lo
	v_mul_lo_u32 v13, v3, s15
	s_delay_alu instid0(VALU_DEP_3) | instskip(SKIP_1) | instid1(VALU_DEP_4)
	v_mul_lo_u32 v12, v0, s13
	v_mad_co_u64_u32 v[9:10], null, v0, s12, 0
	v_mul_lo_u32 v11, v5, s12
	v_mul_lo_u32 v0, v4, s14
	v_mad_co_u64_u32 v[5:6], null, v3, s14, 0
	s_mov_b32 s1, exec_lo
	v_add3_u32 v10, v10, v12, v11
	v_add3_u32 v6, v6, v13, v0
	v_add_co_u32 v0, vcc_lo, s20, v7
	s_delay_alu instid0(VALU_DEP_3) | instskip(SKIP_3) | instid1(VALU_DEP_3)
	v_lshlrev_b64_e32 v[9:10], 2, v[9:10]
	s_wait_alu 0xfffd
	v_add_co_ci_u32_e64 v7, null, s21, v8, vcc_lo
	v_lshlrev_b64_e32 v[11:12], 3, v[5:6]
	v_add_co_u32 v8, vcc_lo, v0, v9
	s_wait_alu 0xfffd
	s_delay_alu instid0(VALU_DEP_3) | instskip(SKIP_1) | instid1(VALU_DEP_3)
	v_add_co_ci_u32_e64 v9, null, v7, v10, vcc_lo
	v_mov_b32_e32 v0, 0xff800000
	v_add_co_u32 v10, vcc_lo, v8, v11
	s_wait_alu 0xfffd
	s_delay_alu instid0(VALU_DEP_3)
	v_add_co_ci_u32_e64 v11, null, v9, v12, vcc_lo
	global_load_b32 v7, v[10:11], off
	v_cmpx_lt_i64_e32 0, v[3:4]
	s_cbranch_execz .LBB3_48
; %bb.47:
	v_lshlrev_b64_e32 v[3:4], 1, v[5:6]
	s_delay_alu instid0(VALU_DEP_1) | instskip(SKIP_1) | instid1(VALU_DEP_2)
	v_sub_co_u32 v3, vcc_lo, v3, s14
	s_wait_alu 0xfffd
	v_subrev_co_ci_u32_e64 v4, null, s15, v4, vcc_lo
	s_delay_alu instid0(VALU_DEP_1) | instskip(NEXT) | instid1(VALU_DEP_1)
	v_lshlrev_b64_e32 v[3:4], 2, v[3:4]
	v_add_co_u32 v3, vcc_lo, v8, v3
	s_wait_alu 0xfffd
	s_delay_alu instid0(VALU_DEP_2)
	v_add_co_ci_u32_e64 v4, null, v9, v4, vcc_lo
	global_load_b32 v0, v[3:4], off
.LBB3_48:
	s_wait_alu 0xfffe
	s_or_b32 exec_lo, exec_lo, s1
	s_wait_loadcnt 0x0
	v_cmp_gt_f32_e32 vcc_lo, v7, v0
	s_wait_alu 0xfffd
	v_cndmask_b32_e32 v3, v0, v7, vcc_lo
	s_delay_alu instid0(VALU_DEP_1) | instskip(SKIP_2) | instid1(VALU_DEP_1)
	v_cmp_neq_f32_e32 vcc_lo, 0xff800000, v3
	s_wait_alu 0xfffd
	v_cndmask_b32_e32 v3, 0, v3, vcc_lo
	v_sub_f32_e32 v0, v0, v3
	s_delay_alu instid0(VALU_DEP_1) | instskip(NEXT) | instid1(VALU_DEP_1)
	v_mul_f32_e32 v6, 0x3fb8aa3b, v0
	v_rndne_f32_e32 v10, v6
	v_fma_f32 v9, 0x3fb8aa3b, v0, -v6
	s_delay_alu instid0(VALU_DEP_2) | instskip(SKIP_1) | instid1(VALU_DEP_1)
	v_sub_f32_e32 v6, v6, v10
	v_sub_f32_e32 v4, v7, v3
	v_mul_f32_e32 v5, 0x3fb8aa3b, v4
	s_delay_alu instid0(VALU_DEP_4) | instskip(NEXT) | instid1(VALU_DEP_2)
	v_fmac_f32_e32 v9, 0x32a5705f, v0
	v_fma_f32 v7, 0x3fb8aa3b, v4, -v5
	v_rndne_f32_e32 v8, v5
	s_delay_alu instid0(VALU_DEP_1) | instskip(NEXT) | instid1(VALU_DEP_3)
	v_dual_add_f32 v6, v6, v9 :: v_dual_sub_f32 v5, v5, v8
	v_fmac_f32_e32 v7, 0x32a5705f, v4
	v_cmp_ngt_f32_e32 vcc_lo, 0xc2ce8ed0, v4
	s_delay_alu instid0(VALU_DEP_3) | instskip(NEXT) | instid1(VALU_DEP_2)
	v_exp_f32_e32 v6, v6
	v_add_f32_e32 v5, v5, v7
	v_cvt_i32_f32_e32 v7, v8
	v_cvt_i32_f32_e32 v8, v10
	s_delay_alu instid0(VALU_DEP_3)
	v_exp_f32_e32 v5, v5
	s_delay_alu instid0(TRANS32_DEP_2) | instid1(VALU_DEP_1)
	v_ldexp_f32 v6, v6, v8
	s_delay_alu instid0(TRANS32_DEP_1) | instskip(SKIP_1) | instid1(VALU_DEP_1)
	v_ldexp_f32 v5, v5, v7
	s_wait_alu 0xfffd
	v_cndmask_b32_e32 v5, 0, v5, vcc_lo
	v_cmp_ngt_f32_e32 vcc_lo, 0xc2ce8ed0, v0
	s_wait_alu 0xfffd
	v_cndmask_b32_e32 v6, 0, v6, vcc_lo
	v_cmp_nlt_f32_e32 vcc_lo, 0x42b17218, v4
	s_wait_alu 0xfffd
	v_cndmask_b32_e32 v4, 0x7f800000, v5, vcc_lo
	v_cmp_nlt_f32_e32 vcc_lo, 0x42b17218, v0
	s_wait_alu 0xfffd
	v_cndmask_b32_e32 v0, 0x7f800000, v6, vcc_lo
	s_delay_alu instid0(VALU_DEP_1) | instskip(NEXT) | instid1(VALU_DEP_1)
	v_add_f32_e32 v0, v4, v0
	v_cmp_gt_f32_e32 vcc_lo, 0x800000, v0
	s_wait_alu 0xfffd
	v_cndmask_b32_e64 v4, 0, 32, vcc_lo
	v_cndmask_b32_e64 v5, 0, 0x41b17218, vcc_lo
	s_delay_alu instid0(VALU_DEP_2) | instskip(NEXT) | instid1(VALU_DEP_1)
	v_ldexp_f32 v0, v0, v4
	v_log_f32_e32 v0, v0
	s_delay_alu instid0(TRANS32_DEP_1) | instskip(SKIP_1) | instid1(VALU_DEP_2)
	v_mul_f32_e32 v4, 0x3f317217, v0
	v_cmp_gt_f32_e64 vcc_lo, 0x7f800000, |v0|
	v_fma_f32 v4, 0x3f317217, v0, -v4
	s_delay_alu instid0(VALU_DEP_1) | instskip(NEXT) | instid1(VALU_DEP_1)
	v_fmamk_f32 v4, v0, 0x3377d1cf, v4
	v_fmac_f32_e32 v4, 0x3f317217, v0
	s_wait_alu 0xfffd
	s_delay_alu instid0(VALU_DEP_1) | instskip(NEXT) | instid1(VALU_DEP_1)
	v_cndmask_b32_e32 v0, v0, v4, vcc_lo
	v_sub_f32_e32 v0, v0, v5
	s_delay_alu instid0(VALU_DEP_1) | instskip(SKIP_1) | instid1(VALU_DEP_2)
	v_add_f32_e32 v3, v3, v0
	v_lshlrev_b64_e32 v[0:1], 2, v[1:2]
	v_xor_b32_e32 v2, 0x80000000, v3
	s_delay_alu instid0(VALU_DEP_2) | instskip(SKIP_1) | instid1(VALU_DEP_3)
	v_add_co_u32 v0, vcc_lo, s18, v0
	s_wait_alu 0xfffd
	v_add_co_ci_u32_e64 v1, null, s19, v1, vcc_lo
	global_store_b32 v[0:1], v2, off
.LBB3_49:
	s_wait_alu 0xfffe
	s_or_b32 exec_lo, exec_lo, s0
                                        ; implicit-def: $vgpr0
                                        ; implicit-def: $vgpr1_vgpr2
                                        ; implicit-def: $vgpr3_vgpr4
.LBB3_50:
	s_and_not1_saveexec_b32 s0, s33
	s_cbranch_execz .LBB3_53
; %bb.51:
	v_and_b32_e32 v0, 0x3ff, v0
	s_delay_alu instid0(VALU_DEP_1)
	v_cmp_eq_u32_e32 vcc_lo, 0, v0
	s_and_b32 exec_lo, exec_lo, vcc_lo
	s_cbranch_execz .LBB3_53
; %bb.52:
	v_lshlrev_b64_e32 v[0:1], 2, v[1:2]
	v_bfrev_b32_e32 v2, 1
	s_delay_alu instid0(VALU_DEP_2) | instskip(SKIP_1) | instid1(VALU_DEP_3)
	v_add_co_u32 v0, vcc_lo, s18, v0
	s_wait_alu 0xfffd
	v_add_co_ci_u32_e64 v1, null, s19, v1, vcc_lo
	s_wait_loadcnt 0x0
	v_cmp_eq_u64_e32 vcc_lo, 0, v[3:4]
	s_wait_alu 0xfffd
	v_cndmask_b32_e32 v2, 0x7f800000, v2, vcc_lo
	global_store_b32 v[0:1], v2, off
.LBB3_53:
	s_endpgm
	.section	.rodata,"a",@progbits
	.p2align	6, 0x0
	.amdhsa_kernel _ZN2at6native12_GLOBAL__N_129ctc_loss_log_alpha_gpu_kernelIfiEEvPT_PKS3_PKllPKT0_S8_lS4_llllllS8_lll
		.amdhsa_group_segment_fixed_size 0
		.amdhsa_private_segment_fixed_size 0
		.amdhsa_kernarg_size 400
		.amdhsa_user_sgpr_count 2
		.amdhsa_user_sgpr_dispatch_ptr 0
		.amdhsa_user_sgpr_queue_ptr 0
		.amdhsa_user_sgpr_kernarg_segment_ptr 1
		.amdhsa_user_sgpr_dispatch_id 0
		.amdhsa_user_sgpr_private_segment_size 0
		.amdhsa_wavefront_size32 1
		.amdhsa_uses_dynamic_stack 0
		.amdhsa_enable_private_segment 0
		.amdhsa_system_sgpr_workgroup_id_x 1
		.amdhsa_system_sgpr_workgroup_id_y 1
		.amdhsa_system_sgpr_workgroup_id_z 0
		.amdhsa_system_sgpr_workgroup_info 0
		.amdhsa_system_vgpr_workitem_id 1
		.amdhsa_next_free_vgpr 47
		.amdhsa_next_free_sgpr 42
		.amdhsa_reserve_vcc 1
		.amdhsa_float_round_mode_32 0
		.amdhsa_float_round_mode_16_64 0
		.amdhsa_float_denorm_mode_32 3
		.amdhsa_float_denorm_mode_16_64 3
		.amdhsa_fp16_overflow 0
		.amdhsa_workgroup_processor_mode 1
		.amdhsa_memory_ordered 1
		.amdhsa_forward_progress 1
		.amdhsa_inst_pref_size 31
		.amdhsa_round_robin_scheduling 0
		.amdhsa_exception_fp_ieee_invalid_op 0
		.amdhsa_exception_fp_denorm_src 0
		.amdhsa_exception_fp_ieee_div_zero 0
		.amdhsa_exception_fp_ieee_overflow 0
		.amdhsa_exception_fp_ieee_underflow 0
		.amdhsa_exception_fp_ieee_inexact 0
		.amdhsa_exception_int_div_zero 0
	.end_amdhsa_kernel
	.section	.text._ZN2at6native12_GLOBAL__N_129ctc_loss_log_alpha_gpu_kernelIfiEEvPT_PKS3_PKllPKT0_S8_lS4_llllllS8_lll,"axG",@progbits,_ZN2at6native12_GLOBAL__N_129ctc_loss_log_alpha_gpu_kernelIfiEEvPT_PKS3_PKllPKT0_S8_lS4_llllllS8_lll,comdat
.Lfunc_end3:
	.size	_ZN2at6native12_GLOBAL__N_129ctc_loss_log_alpha_gpu_kernelIfiEEvPT_PKS3_PKllPKT0_S8_lS4_llllllS8_lll, .Lfunc_end3-_ZN2at6native12_GLOBAL__N_129ctc_loss_log_alpha_gpu_kernelIfiEEvPT_PKS3_PKllPKT0_S8_lS4_llllllS8_lll
                                        ; -- End function
	.set _ZN2at6native12_GLOBAL__N_129ctc_loss_log_alpha_gpu_kernelIfiEEvPT_PKS3_PKllPKT0_S8_lS4_llllllS8_lll.num_vgpr, 47
	.set _ZN2at6native12_GLOBAL__N_129ctc_loss_log_alpha_gpu_kernelIfiEEvPT_PKS3_PKllPKT0_S8_lS4_llllllS8_lll.num_agpr, 0
	.set _ZN2at6native12_GLOBAL__N_129ctc_loss_log_alpha_gpu_kernelIfiEEvPT_PKS3_PKllPKT0_S8_lS4_llllllS8_lll.numbered_sgpr, 42
	.set _ZN2at6native12_GLOBAL__N_129ctc_loss_log_alpha_gpu_kernelIfiEEvPT_PKS3_PKllPKT0_S8_lS4_llllllS8_lll.num_named_barrier, 0
	.set _ZN2at6native12_GLOBAL__N_129ctc_loss_log_alpha_gpu_kernelIfiEEvPT_PKS3_PKllPKT0_S8_lS4_llllllS8_lll.private_seg_size, 0
	.set _ZN2at6native12_GLOBAL__N_129ctc_loss_log_alpha_gpu_kernelIfiEEvPT_PKS3_PKllPKT0_S8_lS4_llllllS8_lll.uses_vcc, 1
	.set _ZN2at6native12_GLOBAL__N_129ctc_loss_log_alpha_gpu_kernelIfiEEvPT_PKS3_PKllPKT0_S8_lS4_llllllS8_lll.uses_flat_scratch, 0
	.set _ZN2at6native12_GLOBAL__N_129ctc_loss_log_alpha_gpu_kernelIfiEEvPT_PKS3_PKllPKT0_S8_lS4_llllllS8_lll.has_dyn_sized_stack, 0
	.set _ZN2at6native12_GLOBAL__N_129ctc_loss_log_alpha_gpu_kernelIfiEEvPT_PKS3_PKllPKT0_S8_lS4_llllllS8_lll.has_recursion, 0
	.set _ZN2at6native12_GLOBAL__N_129ctc_loss_log_alpha_gpu_kernelIfiEEvPT_PKS3_PKllPKT0_S8_lS4_llllllS8_lll.has_indirect_call, 0
	.section	.AMDGPU.csdata,"",@progbits
; Kernel info:
; codeLenInByte = 3956
; TotalNumSgprs: 44
; NumVgprs: 47
; ScratchSize: 0
; MemoryBound: 0
; FloatMode: 240
; IeeeMode: 1
; LDSByteSize: 0 bytes/workgroup (compile time only)
; SGPRBlocks: 0
; VGPRBlocks: 5
; NumSGPRsForWavesPerEU: 44
; NumVGPRsForWavesPerEU: 47
; Occupancy: 16
; WaveLimiterHint : 1
; COMPUTE_PGM_RSRC2:SCRATCH_EN: 0
; COMPUTE_PGM_RSRC2:USER_SGPR: 2
; COMPUTE_PGM_RSRC2:TRAP_HANDLER: 0
; COMPUTE_PGM_RSRC2:TGID_X_EN: 1
; COMPUTE_PGM_RSRC2:TGID_Y_EN: 1
; COMPUTE_PGM_RSRC2:TGID_Z_EN: 0
; COMPUTE_PGM_RSRC2:TIDIG_COMP_CNT: 1
	.section	.text._ZN2at6native12_GLOBAL__N_137ctc_loss_backward_log_beta_gpu_kernelIdlEEvPT_PKS3_PKllPKT0_S8_lllllllS8_lll,"axG",@progbits,_ZN2at6native12_GLOBAL__N_137ctc_loss_backward_log_beta_gpu_kernelIdlEEvPT_PKS3_PKllPKT0_S8_lllllllS8_lll,comdat
	.globl	_ZN2at6native12_GLOBAL__N_137ctc_loss_backward_log_beta_gpu_kernelIdlEEvPT_PKS3_PKllPKT0_S8_lllllllS8_lll ; -- Begin function _ZN2at6native12_GLOBAL__N_137ctc_loss_backward_log_beta_gpu_kernelIdlEEvPT_PKS3_PKllPKT0_S8_lllllllS8_lll
	.p2align	8
	.type	_ZN2at6native12_GLOBAL__N_137ctc_loss_backward_log_beta_gpu_kernelIdlEEvPT_PKS3_PKllPKT0_S8_lllllllS8_lll,@function
_ZN2at6native12_GLOBAL__N_137ctc_loss_backward_log_beta_gpu_kernelIdlEEvPT_PKS3_PKllPKT0_S8_lllllllS8_lll: ; @_ZN2at6native12_GLOBAL__N_137ctc_loss_backward_log_beta_gpu_kernelIdlEEvPT_PKS3_PKllPKT0_S8_lllllllS8_lll
; %bb.0:
	s_clause 0x1
	s_load_u16 s2, s[0:1], 0x96
	s_load_b128 s[20:23], s[0:1], 0x70
	v_bfe_u32 v1, v0, 10, 10
	s_wait_kmcnt 0x0
	s_delay_alu instid0(VALU_DEP_1) | instskip(SKIP_2) | instid1(VALU_DEP_1)
	v_mad_co_u64_u32 v[9:10], null, ttmp7, s2, v[1:2]
	v_mov_b32_e32 v10, 0
	s_mov_b32 s2, exec_lo
	v_cmpx_gt_i64_e64 s[22:23], v[9:10]
	s_cbranch_execz .LBB4_43
; %bb.1:
	s_load_b64 s[2:3], s[0:1], 0x10
	v_lshlrev_b64_e32 v[3:4], 3, v[9:10]
	s_wait_kmcnt 0x0
	s_delay_alu instid0(VALU_DEP_1) | instskip(NEXT) | instid1(VALU_DEP_1)
	v_add_co_u32 v1, vcc_lo, s2, v3
	v_add_co_ci_u32_e64 v2, null, s3, v4, vcc_lo
	global_load_b64 v[1:2], v[1:2], off
	s_wait_loadcnt 0x0
	v_cmp_ne_u64_e32 vcc_lo, 0, v[1:2]
	s_and_b32 exec_lo, exec_lo, vcc_lo
	s_cbranch_execz .LBB4_43
; %bb.2:
	s_clause 0x1
	s_load_b64 s[2:3], s[0:1], 0x28
	s_load_b64 s[4:5], s[0:1], 0x68
	s_mov_b32 s23, 0
	s_wait_kmcnt 0x0
	v_add_co_u32 v5, vcc_lo, s2, v3
	s_wait_alu 0xfffd
	v_add_co_ci_u32_e64 v6, null, s3, v4, vcc_lo
	v_add_co_u32 v3, vcc_lo, s4, v3
	s_wait_alu 0xfffd
	v_add_co_ci_u32_e64 v4, null, s5, v4, vcc_lo
	global_load_b64 v[11:12], v[5:6], off
	global_load_b64 v[7:8], v[3:4], off
	s_load_b256 s[4:11], s[0:1], 0x30
	s_add_nc_u64 s[2:3], s[0:1], 0x88
	s_load_b32 s12, s[2:3], 0xc
	s_mov_b32 s2, s23
	s_wait_kmcnt 0x0
	s_lshl_b64 s[28:29], s[4:5], 1
	s_delay_alu instid0(SALU_CYCLE_1)
	s_mov_b32 s3, s29
	s_and_b32 s22, s12, 0xffff
	s_wait_alu 0xfffe
	s_cmp_lg_u64 s[2:3], 0
	s_cbranch_scc0 .LBB4_44
; %bb.3:
	s_add_nc_u64 s[2:3], s[22:23], 0
	s_mov_b32 s15, s23
	s_wait_alu 0xfffe
	s_xor_b64 s[2:3], s[2:3], 0
	s_mov_b32 s19, s23
	s_wait_alu 0xfffe
	s_cvt_f32_u32 s4, s2
	s_cvt_f32_u32 s5, s3
	s_sub_nc_u64 s[12:13], 0, s[2:3]
	s_wait_alu 0xfffe
	s_delay_alu instid0(SALU_CYCLE_1) | instskip(SKIP_1) | instid1(SALU_CYCLE_2)
	s_fmamk_f32 s4, s5, 0x4f800000, s4
	s_wait_alu 0xfffe
	v_s_rcp_f32 s4, s4
	s_delay_alu instid0(TRANS32_DEP_1) | instskip(SKIP_1) | instid1(SALU_CYCLE_2)
	s_mul_f32 s4, s4, 0x5f7ffffc
	s_wait_alu 0xfffe
	s_mul_f32 s5, s4, 0x2f800000
	s_wait_alu 0xfffe
	s_delay_alu instid0(SALU_CYCLE_2) | instskip(SKIP_1) | instid1(SALU_CYCLE_2)
	s_trunc_f32 s5, s5
	s_wait_alu 0xfffe
	s_fmamk_f32 s4, s5, 0xcf800000, s4
	s_cvt_u32_f32 s5, s5
	s_wait_alu 0xfffe
	s_delay_alu instid0(SALU_CYCLE_1) | instskip(SKIP_1) | instid1(SALU_CYCLE_2)
	s_cvt_u32_f32 s4, s4
	s_wait_alu 0xfffe
	s_mul_u64 s[16:17], s[12:13], s[4:5]
	s_delay_alu instid0(SALU_CYCLE_1)
	s_mul_hi_u32 s25, s4, s17
	s_mul_i32 s24, s4, s17
	s_mul_hi_u32 s14, s4, s16
	s_mul_i32 s26, s5, s16
	s_add_nc_u64 s[14:15], s[14:15], s[24:25]
	s_mul_hi_u32 s18, s5, s16
	s_mul_hi_u32 s27, s5, s17
	s_add_co_u32 s14, s14, s26
	s_add_co_ci_u32 s18, s15, s18
	s_mul_i32 s16, s5, s17
	s_add_co_ci_u32 s17, s27, 0
	s_delay_alu instid0(SALU_CYCLE_1) | instskip(SKIP_3) | instid1(SALU_CYCLE_1)
	s_add_nc_u64 s[14:15], s[18:19], s[16:17]
	s_mov_b32 s17, s23
	s_add_co_u32 s4, s4, s14
	s_cselect_b32 s14, -1, 0
	s_cmp_lg_u32 s14, 0
	s_add_co_ci_u32 s5, s5, s15
	s_mov_b32 s15, s23
	s_wait_alu 0xfffe
	s_mul_u64 s[12:13], s[12:13], s[4:5]
	s_delay_alu instid0(SALU_CYCLE_1)
	s_mul_hi_u32 s19, s4, s13
	s_mul_i32 s18, s4, s13
	s_mul_hi_u32 s14, s4, s12
	s_mul_i32 s24, s5, s12
	s_add_nc_u64 s[14:15], s[14:15], s[18:19]
	s_mul_hi_u32 s16, s5, s12
	s_mul_hi_u32 s25, s5, s13
	s_mul_i32 s12, s5, s13
	s_add_co_u32 s13, s14, s24
	s_add_co_ci_u32 s16, s15, s16
	s_add_co_ci_u32 s13, s25, 0
	s_mov_b32 s15, s23
	s_add_nc_u64 s[12:13], s[16:17], s[12:13]
	s_delay_alu instid0(SALU_CYCLE_1)
	s_add_co_u32 s16, s4, s12
	s_cselect_b32 s4, -1, 0
	s_wait_alu 0xfffe
	s_cmp_lg_u32 s4, 0
	s_add_co_ci_u32 s24, s5, s13
	s_ashr_i32 s4, s29, 31
	s_wait_alu 0xfffe
	s_mov_b32 s5, s4
	s_wait_alu 0xfffe
	s_add_nc_u64 s[12:13], s[28:29], s[4:5]
	s_delay_alu instid0(SALU_CYCLE_1) | instskip(NEXT) | instid1(SALU_CYCLE_1)
	s_xor_b64 s[12:13], s[12:13], s[4:5]
	s_mul_hi_u32 s19, s12, s24
	s_mul_i32 s18, s12, s24
	s_mul_hi_u32 s14, s12, s16
	s_mul_hi_u32 s26, s13, s16
	s_mul_i32 s16, s13, s16
	s_add_nc_u64 s[14:15], s[14:15], s[18:19]
	s_mul_hi_u32 s25, s13, s24
	s_add_co_u32 s14, s14, s16
	s_add_co_ci_u32 s16, s15, s26
	s_mul_i32 s18, s13, s24
	s_add_co_ci_u32 s19, s25, 0
	s_delay_alu instid0(SALU_CYCLE_1) | instskip(NEXT) | instid1(SALU_CYCLE_1)
	s_add_nc_u64 s[14:15], s[16:17], s[18:19]
	s_mul_u64 s[14:15], s[2:3], s[14:15]
	s_delay_alu instid0(SALU_CYCLE_1)
	s_sub_co_u32 s12, s12, s14
	s_cselect_b32 s14, -1, 0
	s_sub_co_i32 s16, s13, s15
	s_cmp_lg_u32 s14, 0
	s_sub_co_ci_u32 s16, s16, s3
	s_sub_co_u32 s17, s12, s2
	s_cselect_b32 s18, -1, 0
	s_delay_alu instid0(SALU_CYCLE_1) | instskip(SKIP_1) | instid1(SALU_CYCLE_1)
	s_cmp_lg_u32 s18, 0
	s_sub_co_ci_u32 s19, s16, 0
	s_cmp_ge_u32 s19, s3
	s_cselect_b32 s24, -1, 0
	s_cmp_ge_u32 s17, s2
	s_cselect_b32 s25, -1, 0
	s_cmp_eq_u32 s19, s3
	s_cselect_b32 s24, s25, s24
	s_cmp_lg_u32 s18, 0
	s_sub_co_ci_u32 s16, s16, s3
	s_sub_co_u32 s18, s17, s2
	s_cselect_b32 s25, -1, 0
	s_delay_alu instid0(SALU_CYCLE_1)
	s_cmp_lg_u32 s25, 0
	s_sub_co_ci_u32 s16, s16, 0
	s_cmp_lg_u32 s24, 0
	s_cselect_b32 s17, s18, s17
	s_cselect_b32 s16, s16, s19
	s_cmp_lg_u32 s14, 0
	s_sub_co_ci_u32 s13, s13, s15
	s_delay_alu instid0(SALU_CYCLE_1)
	s_cmp_ge_u32 s13, s3
	s_cselect_b32 s14, -1, 0
	s_cmp_ge_u32 s12, s2
	s_cselect_b32 s2, -1, 0
	s_cmp_eq_u32 s13, s3
	s_wait_alu 0xfffe
	s_cselect_b32 s2, s2, s14
	s_wait_alu 0xfffe
	s_cmp_lg_u32 s2, 0
	s_cselect_b32 s3, s16, s13
	s_cselect_b32 s2, s17, s12
	s_wait_alu 0xfffe
	s_xor_b64 s[2:3], s[2:3], s[4:5]
	s_wait_alu 0xfffe
	s_sub_nc_u64 s[2:3], s[2:3], s[4:5]
	s_mov_b32 s4, s23
	s_wait_alu 0xfffe
	s_and_not1_b32 vcc_lo, exec_lo, s4
	s_wait_alu 0xfffe
	s_cbranch_vccnz .LBB4_5
.LBB4_4:
	v_cvt_f32_u32_e32 v3, s22
	s_sub_co_i32 s3, 0, s22
	s_delay_alu instid0(VALU_DEP_1) | instskip(NEXT) | instid1(TRANS32_DEP_1)
	v_rcp_iflag_f32_e32 v3, v3
	v_mul_f32_e32 v3, 0x4f7ffffe, v3
	s_delay_alu instid0(VALU_DEP_1) | instskip(NEXT) | instid1(VALU_DEP_1)
	v_cvt_u32_f32_e32 v3, v3
	v_readfirstlane_b32 s2, v3
	s_wait_alu 0xfffe
	s_mul_i32 s3, s3, s2
	s_wait_alu 0xfffe
	s_mul_hi_u32 s3, s2, s3
	s_wait_alu 0xfffe
	s_add_co_i32 s2, s2, s3
	s_wait_alu 0xfffe
	s_mul_hi_u32 s2, s28, s2
	s_wait_alu 0xfffe
	s_mul_i32 s2, s2, s22
	s_wait_alu 0xfffe
	s_sub_co_i32 s2, s28, s2
	s_wait_alu 0xfffe
	s_sub_co_i32 s3, s2, s22
	s_cmp_ge_u32 s2, s22
	s_wait_alu 0xfffe
	s_cselect_b32 s2, s3, s2
	s_mov_b32 s3, 0
	s_wait_alu 0xfffe
	s_sub_co_i32 s4, s2, s22
	s_cmp_ge_u32 s2, s22
	s_wait_alu 0xfffe
	s_cselect_b32 s2, s4, s2
.LBB4_5:
	s_wait_alu 0xfffe
	s_sub_nc_u64 s[30:31], s[28:29], s[2:3]
	s_delay_alu instid0(SALU_CYCLE_1)
	v_cmp_lt_i64_e64 s4, s[30:31], 0
	s_and_b32 vcc_lo, exec_lo, s4
	s_wait_alu 0xfffe
	s_cbranch_vccnz .LBB4_43
; %bb.6:
	v_mad_co_u64_u32 v[13:14], null, s8, v9, 0
	s_clause 0x2
	s_load_b64 s[34:35], s[0:1], 0x80
	s_load_b128 s[24:27], s[0:1], 0x0
	s_load_b64 s[4:5], s[0:1], 0x20
	v_add_co_u32 v3, vcc_lo, v1, -1
	s_wait_alu 0xfffd
	v_add_co_ci_u32_e64 v4, null, -1, v2, vcc_lo
	s_load_b256 s[12:19], s[0:1], 0x50
	v_dual_mov_b32 v5, v14 :: v_dual_and_b32 v0, 0x3ff, v0
	v_mul_lo_u32 v10, v4, s6
	v_mul_lo_u32 v19, v3, s7
	s_wait_loadcnt 0x0
	v_lshlrev_b64_e32 v[17:18], 3, v[7:8]
	v_mad_co_u64_u32 v[14:15], null, s9, v9, v[5:6]
	v_mad_co_u64_u32 v[15:16], null, v3, s6, 0
	v_lshlrev_b64_e32 v[5:6], 1, v[11:12]
	s_delay_alu instid0(VALU_DEP_1) | instskip(NEXT) | instid1(VALU_DEP_3)
	v_add_co_u32 v7, vcc_lo, v5, -1
	v_add3_u32 v16, v16, v19, v10
	v_lshlrev_b64_e32 v[19:20], 3, v[13:14]
	s_wait_alu 0xfffd
	s_delay_alu instid0(VALU_DEP_4)
	v_add_co_ci_u32_e64 v8, null, -1, v6, vcc_lo
	s_wait_kmcnt 0x0
	v_add_co_u32 v39, vcc_lo, s4, v17
	v_lshlrev_b64_e32 v[13:14], 3, v[15:16]
	s_wait_alu 0xfffd
	v_add_co_ci_u32_e64 v40, null, s5, v18, vcc_lo
	v_add_co_u32 v10, vcc_lo, s26, v19
	s_wait_alu 0xfffd
	v_add_co_ci_u32_e64 v15, null, s27, v20, vcc_lo
	v_add_co_u32 v16, s4, s28, v0
	s_delay_alu instid0(VALU_DEP_3)
	v_add_co_u32 v31, vcc_lo, v10, v13
	s_wait_alu 0xf1ff
	v_add_co_ci_u32_e64 v10, null, s29, 0, s4
	v_mad_co_u64_u32 v[21:22], null, s12, v9, 0
	s_wait_alu 0xfffd
	v_add_co_ci_u32_e64 v32, null, v15, v14, vcc_lo
	v_sub_co_u32 v13, vcc_lo, v16, s2
	s_wait_alu 0xfffd
	v_subrev_co_ci_u32_e64 v14, null, s3, v10, vcc_lo
	v_mul_lo_u32 v26, s15, v3
	s_delay_alu instid0(VALU_DEP_3) | instskip(SKIP_1) | instid1(VALU_DEP_4)
	v_mul_lo_u32 v24, s17, v13
	v_mad_co_u64_u32 v[15:16], null, s16, v13, 0
	v_mul_lo_u32 v25, s16, v14
	v_mul_lo_u32 v27, s14, v4
	v_mad_co_u64_u32 v[17:18], null, s14, v3, 0
	v_mov_b32_e32 v10, v22
	v_alignbit_b32 v23, v8, v7, 1
	v_lshrrev_b32_e32 v22, 1, v8
	s_mul_u64 s[4:5], s[34:35], s[10:11]
	v_add3_u32 v16, v16, v25, v24
	v_mad_co_u64_u32 v[9:10], null, s13, v9, v[10:11]
	v_mul_lo_u32 v28, v23, s21
	v_add3_u32 v18, v18, v27, v26
	v_mad_co_u64_u32 v[23:24], null, v23, s20, 0
	v_mul_lo_u32 v10, v22, s20
	v_lshlrev_b64_e32 v[15:16], 3, v[15:16]
	s_delay_alu instid0(VALU_DEP_4)
	v_lshlrev_b64_e32 v[25:26], 3, v[17:18]
	v_mov_b32_e32 v22, v9
	s_wait_alu 0xfffe
	s_lshl_b64 s[2:3], s[4:5], 3
	s_wait_alu 0xfffe
	v_add_co_u32 v17, vcc_lo, v31, s2
	v_add3_u32 v24, v24, v28, v10
	v_lshlrev_b64_e32 v[9:10], 3, v[21:22]
	s_wait_alu 0xfffd
	v_add_co_ci_u32_e64 v18, null, s3, v32, vcc_lo
	v_add_co_u32 v25, vcc_lo, v15, v25
	s_wait_alu 0xfffd
	v_add_co_ci_u32_e64 v26, null, v16, v26, vcc_lo
	v_lshlrev_b64_e32 v[21:22], 3, v[23:24]
	s_delay_alu instid0(VALU_DEP_3) | instskip(SKIP_1) | instid1(VALU_DEP_3)
	v_add_co_u32 v23, vcc_lo, v25, v9
	s_wait_alu 0xfffd
	v_add_co_ci_u32_e64 v24, null, v26, v10, vcc_lo
	s_mul_u64 s[2:3], s[16:17], s[22:23]
	v_add_co_u32 v21, vcc_lo, v39, v21
	s_wait_alu 0xfffd
	v_add_co_ci_u32_e64 v22, null, v40, v22, vcc_lo
	v_add_co_u32 v23, vcc_lo, s24, v23
	s_wait_alu 0xfffd
	v_add_co_ci_u32_e64 v24, null, s25, v24, vcc_lo
	v_sub_co_u32 v25, vcc_lo, v5, v0
	s_wait_alu 0xfffd
	v_subrev_co_ci_u32_e64 v26, null, 0, v6, vcc_lo
	s_wait_alu 0xfffe
	s_lshl_b64 s[2:3], s[2:3], 3
	v_add_co_u32 v27, vcc_lo, v25, -1
	s_wait_alu 0xfffd
	v_add_co_ci_u32_e64 v28, null, -1, v26, vcc_lo
	s_wait_alu 0xfffe
	s_sub_nc_u64 s[12:13], 0, s[2:3]
	s_mov_b64 s[2:3], s[30:31]
	s_branch .LBB4_8
.LBB4_7:                                ;   in Loop: Header=BB4_8 Depth=1
	s_wait_alu 0xfffe
	s_or_b32 exec_lo, exec_lo, s4
	s_sub_nc_u64 s[2:3], s[2:3], s[22:23]
	v_add_co_u32 v23, vcc_lo, v23, s12
	s_wait_alu 0xfffe
	v_cmp_lt_i64_e64 s4, s[2:3], 0
	s_wait_alu 0xfffd
	v_add_co_ci_u32_e64 v24, null, s13, v24, vcc_lo
	s_and_b32 vcc_lo, exec_lo, s4
	s_wait_alu 0xfffe
	s_cbranch_vccnz .LBB4_16
.LBB4_8:                                ; =>This Inner Loop Header: Depth=1
	s_mov_b32 s4, exec_lo
                                        ; implicit-def: $vgpr29_vgpr30
	s_wait_alu 0xfffe
	v_cmpx_ne_u64_e64 s[2:3], v[25:26]
	s_xor_b32 s4, exec_lo, s4
	s_cbranch_execz .LBB4_12
; %bb.9:                                ;   in Loop: Header=BB4_8 Depth=1
	s_wait_loadcnt 0x0
	v_mov_b32_e32 v29, 0
	v_mov_b32_e32 v30, 0xfff00000
	s_mov_b32 s5, exec_lo
	v_cmpx_eq_u64_e64 s[2:3], v[27:28]
	s_cbranch_execz .LBB4_11
; %bb.10:                               ;   in Loop: Header=BB4_8 Depth=1
	global_load_b64 v[29:30], v[21:22], off
	s_wait_loadcnt 0x0
	v_mul_lo_u32 v33, v30, s10
	v_mul_lo_u32 v34, v29, s11
	v_mad_co_u64_u32 v[29:30], null, v29, s10, 0
	s_delay_alu instid0(VALU_DEP_1) | instskip(NEXT) | instid1(VALU_DEP_1)
	v_add3_u32 v30, v30, v34, v33
	v_lshlrev_b64_e32 v[29:30], 3, v[29:30]
	s_delay_alu instid0(VALU_DEP_1) | instskip(SKIP_1) | instid1(VALU_DEP_2)
	v_add_co_u32 v29, vcc_lo, v31, v29
	s_wait_alu 0xfffd
	v_add_co_ci_u32_e64 v30, null, v32, v30, vcc_lo
	global_load_b64 v[29:30], v[29:30], off
.LBB4_11:                               ;   in Loop: Header=BB4_8 Depth=1
	s_wait_alu 0xfffe
	s_or_b32 exec_lo, exec_lo, s5
.LBB4_12:                               ;   in Loop: Header=BB4_8 Depth=1
	s_wait_alu 0xfffe
	s_and_not1_saveexec_b32 s4, s4
	s_cbranch_execz .LBB4_14
; %bb.13:                               ;   in Loop: Header=BB4_8 Depth=1
	s_wait_loadcnt 0x0
	global_load_b64 v[29:30], v[17:18], off
.LBB4_14:                               ;   in Loop: Header=BB4_8 Depth=1
	s_wait_alu 0xfffe
	s_or_b32 exec_lo, exec_lo, s4
	v_add_co_u32 v33, s4, v0, s2
	s_wait_alu 0xf1ff
	v_add_co_ci_u32_e64 v34, null, 0, s3, s4
	s_mov_b32 s4, exec_lo
	v_cmpx_ge_i64_e64 s[28:29], v[33:34]
	s_cbranch_execz .LBB4_7
; %bb.15:                               ;   in Loop: Header=BB4_8 Depth=1
	s_wait_loadcnt 0x0
	global_store_b64 v[23:24], v[29:30], off
	s_branch .LBB4_7
.LBB4_16:
	s_load_b64 s[2:3], s[0:1], 0x18
	v_add_co_u32 v17, vcc_lo, v13, 2
	s_wait_alu 0xfffd
	v_add_co_ci_u32_e64 v18, null, 0, v14, vcc_lo
	v_lshlrev_b64_e32 v[13:14], 3, v[13:14]
	s_delay_alu instid0(VALU_DEP_3) | instskip(SKIP_1) | instid1(VALU_DEP_3)
	v_mul_lo_u32 v21, s17, v17
	s_lshl_b64 s[4:5], s[14:15], 3
	v_mul_lo_u32 v22, s16, v18
	v_mad_co_u64_u32 v[17:18], null, s16, v17, 0
	s_wait_alu 0xfffe
	s_sub_nc_u64 s[18:19], 0, s[4:5]
	v_add_co_u32 v13, vcc_lo, v13, 8
	s_wait_alu 0xfffd
	v_add_co_ci_u32_e64 v14, null, 0, v14, vcc_lo
	v_cmp_lt_i64_e64 s0, 0, v[11:12]
	s_delay_alu instid0(VALU_DEP_4)
	v_add3_u32 v18, v18, v22, v21
	v_cmp_ne_u64_e64 s1, 0, v[11:12]
	v_mul_lo_u32 v24, s17, v13
	s_wait_kmcnt 0x0
	s_add_nc_u64 s[4:5], s[2:3], -1
	s_add_nc_u64 s[36:37], s[2:3], -2
	s_wait_alu 0xfffe
	s_mul_u64 s[4:5], s[14:15], s[4:5]
	s_mul_u64 s[8:9], s[14:15], s[36:37]
	s_wait_alu 0xfffe
	s_lshl_b64 s[4:5], s[4:5], 3
	s_lshl_b64 s[8:9], s[8:9], 3
	s_wait_alu 0xfffe
	s_add_nc_u64 s[4:5], s[24:25], s[4:5]
	v_lshlrev_b64_e32 v[17:18], 3, v[17:18]
	s_add_nc_u64 s[8:9], s[24:25], s[8:9]
	s_wait_alu 0xfffe
	v_mad_co_u64_u32 v[11:12], null, s16, v13, s[4:5]
	v_add_co_u32 v13, vcc_lo, s8, v15
	v_mul_lo_u32 v23, s16, v14
	s_wait_alu 0xfffd
	v_add_co_ci_u32_e64 v14, null, s9, v16, vcc_lo
	s_mul_u64 s[8:9], s[6:7], s[36:37]
	v_add_co_u32 v15, vcc_lo, s4, v15
	s_wait_alu 0xfffd
	v_add_co_ci_u32_e64 v16, null, s5, v16, vcc_lo
	s_wait_alu 0xfffe
	s_lshl_b64 s[8:9], s[8:9], 3
	v_add_co_u32 v17, vcc_lo, s4, v17
	s_wait_alu 0xfffd
	v_add_co_ci_u32_e64 v18, null, s5, v18, vcc_lo
	s_wait_alu 0xfffe
	s_add_nc_u64 s[4:5], s[26:27], s[8:9]
	v_cmp_gt_i64_e64 s33, s[2:3], 1
	s_wait_alu 0xfffe
	v_add_co_u32 v19, vcc_lo, s4, v19
	v_add3_u32 v12, v24, v12, v23
	s_wait_alu 0xfffd
	v_add_co_ci_u32_e64 v20, null, s5, v20, vcc_lo
	s_lshl_b64 s[4:5], s[6:7], 3
	s_mov_b32 s16, 0x652b82fe
	s_mov_b32 s24, 0xfefa39ef
	;; [unrolled: 1-line block ×20, first 2 shown]
	s_lshl_b64 s[10:11], s[10:11], 3
	s_wait_alu 0xfffe
	s_sub_nc_u64 s[14:15], 0, s[4:5]
	s_mov_b32 s17, 0x3ff71547
	s_mov_b32 s25, 0xbfe62e42
	;; [unrolled: 1-line block ×23, first 2 shown]
	s_branch .LBB4_18
.LBB4_17:                               ;   in Loop: Header=BB4_18 Depth=1
	v_add_co_u32 v13, vcc_lo, v13, s12
	s_wait_alu 0xfffd
	v_add_co_ci_u32_e64 v14, null, s13, v14, vcc_lo
	v_add_co_u32 v11, vcc_lo, v11, s12
	s_sub_nc_u64 s[30:31], s[30:31], s[22:23]
	s_wait_alu 0xfffd
	v_add_co_ci_u32_e64 v12, null, s13, v12, vcc_lo
	v_add_co_u32 v15, vcc_lo, v15, s12
	s_wait_alu 0xfffe
	v_cmp_lt_i64_e64 s2, s[30:31], 0
	s_wait_alu 0xfffd
	v_add_co_ci_u32_e64 v16, null, s13, v16, vcc_lo
	v_add_co_u32 v17, vcc_lo, v17, s12
	s_wait_alu 0xfffd
	v_add_co_ci_u32_e64 v18, null, s13, v18, vcc_lo
	s_and_b32 vcc_lo, exec_lo, s2
	s_wait_alu 0xfffe
	s_cbranch_vccnz .LBB4_43
.LBB4_18:                               ; =>This Loop Header: Depth=1
                                        ;     Child Loop BB4_29 Depth 2
	v_add_co_u32 v23, s2, s30, v0
	s_wait_alu 0xf1ff
	v_add_co_ci_u32_e64 v24, null, s31, 0, s2
	s_wait_loadcnt 0x0
	v_dual_mov_b32 v25, s34 :: v_dual_mov_b32 v26, s35
	s_mov_b32 s78, 0
	s_delay_alu instid0(VALU_DEP_2)
	v_cmp_le_i64_e64 s3, v[23:24], v[5:6]
	s_and_b32 s2, s0, s3
	s_wait_alu 0xfffe
	s_and_saveexec_b32 s4, s2
	s_cbranch_execz .LBB4_26
; %bb.19:                               ;   in Loop: Header=BB4_18 Depth=1
	v_and_b32_e32 v21, 1, v23
	v_dual_mov_b32 v25, s34 :: v_dual_mov_b32 v26, s35
	s_delay_alu instid0(VALU_DEP_2)
	v_cmp_eq_u32_e32 vcc_lo, 1, v21
	s_and_saveexec_b32 s5, vcc_lo
	s_cbranch_execz .LBB4_21
; %bb.20:                               ;   in Loop: Header=BB4_18 Depth=1
	v_alignbit_b32 v21, v24, v23, 1
	v_lshrrev_b32_e32 v25, 1, v24
	s_delay_alu instid0(VALU_DEP_2) | instskip(SKIP_1) | instid1(VALU_DEP_3)
	v_mul_lo_u32 v26, v21, s21
	v_mad_co_u64_u32 v[21:22], null, v21, s20, 0
	v_mul_lo_u32 v25, v25, s20
	s_delay_alu instid0(VALU_DEP_1) | instskip(NEXT) | instid1(VALU_DEP_1)
	v_add3_u32 v22, v22, v26, v25
	v_lshlrev_b64_e32 v[21:22], 3, v[21:22]
	s_delay_alu instid0(VALU_DEP_1) | instskip(SKIP_1) | instid1(VALU_DEP_2)
	v_add_co_u32 v21, s2, v39, v21
	s_wait_alu 0xf1ff
	v_add_co_ci_u32_e64 v22, null, v40, v22, s2
	global_load_b64 v[25:26], v[21:22], off
.LBB4_21:                               ;   in Loop: Header=BB4_18 Depth=1
	s_wait_alu 0xfffe
	s_or_b32 exec_lo, exec_lo, s5
	s_mov_b32 s6, 0
	s_mov_b32 s5, exec_lo
	v_cmpx_lt_i64_e64 v[23:24], v[7:8]
	s_cbranch_execz .LBB4_25
; %bb.22:                               ;   in Loop: Header=BB4_18 Depth=1
	v_dual_mov_b32 v21, s34 :: v_dual_mov_b32 v22, s35
	s_and_saveexec_b32 s2, vcc_lo
	s_cbranch_execz .LBB4_24
; %bb.23:                               ;   in Loop: Header=BB4_18 Depth=1
	v_add_co_u32 v21, vcc_lo, v23, 2
	s_wait_alu 0xfffd
	v_add_co_ci_u32_e64 v22, null, 0, v24, vcc_lo
	s_delay_alu instid0(VALU_DEP_1) | instskip(SKIP_1) | instid1(VALU_DEP_2)
	v_alignbit_b32 v21, v22, v21, 1
	v_lshrrev_b32_e32 v27, 1, v22
	v_mul_lo_u32 v28, v21, s21
	v_mad_co_u64_u32 v[21:22], null, v21, s20, 0
	s_delay_alu instid0(VALU_DEP_3) | instskip(NEXT) | instid1(VALU_DEP_1)
	v_mul_lo_u32 v27, v27, s20
	v_add3_u32 v22, v22, v28, v27
	s_delay_alu instid0(VALU_DEP_1) | instskip(NEXT) | instid1(VALU_DEP_1)
	v_lshlrev_b64_e32 v[21:22], 3, v[21:22]
	v_add_co_u32 v21, vcc_lo, v39, v21
	s_wait_alu 0xfffd
	s_delay_alu instid0(VALU_DEP_2)
	v_add_co_ci_u32_e64 v22, null, v40, v22, vcc_lo
	global_load_b64 v[21:22], v[21:22], off
.LBB4_24:                               ;   in Loop: Header=BB4_18 Depth=1
	s_wait_alu 0xfffe
	s_or_b32 exec_lo, exec_lo, s2
	s_wait_loadcnt 0x0
	v_cmp_ne_u64_e32 vcc_lo, v[21:22], v[25:26]
	s_and_b32 s6, vcc_lo, exec_lo
.LBB4_25:                               ;   in Loop: Header=BB4_18 Depth=1
	s_wait_alu 0xfffe
	s_or_b32 exec_lo, exec_lo, s5
	s_delay_alu instid0(SALU_CYCLE_1)
	s_and_b32 s78, s6, exec_lo
.LBB4_26:                               ;   in Loop: Header=BB4_18 Depth=1
	s_wait_alu 0xfffe
	s_or_b32 exec_lo, exec_lo, s4
	s_delay_alu instid0(SALU_CYCLE_1)
	s_and_not1_b32 vcc_lo, exec_lo, s33
	s_wait_alu 0xfffe
	s_cbranch_vccnz .LBB4_17
; %bb.27:                               ;   in Loop: Header=BB4_18 Depth=1
	s_wait_loadcnt 0x0
	v_mad_co_u64_u32 v[21:22], null, s10, v25, v[19:20]
	v_mul_lo_u32 v26, s10, v26
	v_mul_lo_u32 v25, s11, v25
	v_cmp_gt_i64_e64 s4, 1, v[23:24]
	v_cmp_lt_i64_e64 s2, v[23:24], v[5:6]
	v_cmp_lt_i64_e32 vcc_lo, s[28:29], v[23:24]
	v_dual_mov_b32 v24, v18 :: v_dual_mov_b32 v23, v17
	v_dual_mov_b32 v28, v12 :: v_dual_mov_b32 v27, v11
	v_add3_u32 v22, v25, v22, v26
	v_dual_mov_b32 v26, v16 :: v_dual_mov_b32 v25, v15
	v_dual_mov_b32 v30, v14 :: v_dual_mov_b32 v29, v13
	s_or_b32 s4, s1, s4
	s_xor_b32 s80, s3, -1
	s_wait_alu 0xfffe
	s_and_b32 s79, s4, s3
	s_mov_b64 s[76:77], s[36:37]
	s_branch .LBB4_29
.LBB4_28:                               ;   in Loop: Header=BB4_29 Depth=2
	s_wait_alu 0xfffe
	s_or_b32 exec_lo, exec_lo, s4
	v_add_co_u32 v29, s3, v29, s18
	s_wait_alu 0xf1ff
	v_add_co_ci_u32_e64 v30, null, s19, v30, s3
	v_add_co_u32 v27, s3, v27, s18
	s_wait_alu 0xf1ff
	v_add_co_ci_u32_e64 v28, null, s19, v28, s3
	;; [unrolled: 3-line block ×5, first 2 shown]
	s_add_nc_u64 s[76:77], s[76:77], -1
	s_wait_alu 0xfffe
	s_cmp_eq_u64 s[76:77], -1
	s_cbranch_scc1 .LBB4_17
.LBB4_29:                               ;   Parent Loop BB4_18 Depth=1
                                        ; =>  This Inner Loop Header: Depth=2
	s_wait_alu 0xfffe
	v_cmp_ge_i64_e64 s3, s[76:77], v[3:4]
	s_mov_b32 s81, 0
	s_wait_storecnt 0x0
	s_barrier_signal -1
	s_barrier_wait -1
	global_inv scope:SCOPE_SE
	s_or_b32 s3, s80, s3
	s_wait_alu 0xfffe
	s_and_saveexec_b32 s4, s3
	s_wait_alu 0xfffe
	s_xor_b32 s4, exec_lo, s4
; %bb.30:                               ;   in Loop: Header=BB4_29 Depth=2
	v_cmp_lt_i64_e64 s3, s[76:77], v[1:2]
	s_and_b32 s3, s3, s79
	s_wait_alu 0xfffe
	s_nor_b32 s3, vcc_lo, s3
	s_wait_alu 0xfffe
	s_and_b32 s81, s3, exec_lo
; %bb.31:                               ;   in Loop: Header=BB4_29 Depth=2
	s_or_saveexec_b32 s82, s4
	v_mov_b32_e32 v31, 0
	v_mov_b32_e32 v32, 0xfff00000
	s_xor_b32 exec_lo, exec_lo, s82
	s_cbranch_execz .LBB4_41
; %bb.32:                               ;   in Loop: Header=BB4_29 Depth=2
	v_add_co_u32 v31, s3, v25, v9
	s_wait_alu 0xf1ff
	v_add_co_ci_u32_e64 v32, null, v26, v10, s3
	v_mov_b32_e32 v33, 0
	v_mov_b32_e32 v34, 0xfff00000
	global_load_b64 v[35:36], v[31:32], off
	v_mov_b32_e32 v31, 0
	v_mov_b32_e32 v32, 0xfff00000
	s_wait_loadcnt 0x0
	v_dual_mov_b32 v38, v36 :: v_dual_mov_b32 v37, v35
	s_and_saveexec_b32 s4, s2
	s_cbranch_execz .LBB4_36
; %bb.33:                               ;   in Loop: Header=BB4_29 Depth=2
	v_add_co_u32 v33, s3, v27, v9
	s_wait_alu 0xf1ff
	v_add_co_ci_u32_e64 v34, null, v28, v10, s3
	v_dual_mov_b32 v38, v36 :: v_dual_mov_b32 v37, v35
	s_mov_b32 s5, exec_lo
	global_load_b64 v[33:34], v[33:34], off
	s_wait_loadcnt 0x0
	v_cmpx_gt_f64_e32 v[33:34], v[35:36]
; %bb.34:                               ;   in Loop: Header=BB4_29 Depth=2
	v_dual_mov_b32 v38, v34 :: v_dual_mov_b32 v37, v33
; %bb.35:                               ;   in Loop: Header=BB4_29 Depth=2
	s_wait_alu 0xfffe
	s_or_b32 exec_lo, exec_lo, s5
.LBB4_36:                               ;   in Loop: Header=BB4_29 Depth=2
	s_wait_alu 0xfffe
	s_or_b32 exec_lo, exec_lo, s4
	s_and_saveexec_b32 s4, s78
	s_cbranch_execz .LBB4_40
; %bb.37:                               ;   in Loop: Header=BB4_29 Depth=2
	v_add_co_u32 v31, s3, v23, v9
	s_wait_alu 0xf1ff
	v_add_co_ci_u32_e64 v32, null, v24, v10, s3
	s_mov_b32 s5, exec_lo
	global_load_b64 v[31:32], v[31:32], off
	s_wait_loadcnt 0x0
	v_cmpx_gt_f64_e32 v[31:32], v[37:38]
; %bb.38:                               ;   in Loop: Header=BB4_29 Depth=2
	v_dual_mov_b32 v38, v32 :: v_dual_mov_b32 v37, v31
; %bb.39:                               ;   in Loop: Header=BB4_29 Depth=2
	s_wait_alu 0xfffe
	s_or_b32 exec_lo, exec_lo, s5
.LBB4_40:                               ;   in Loop: Header=BB4_29 Depth=2
	s_wait_alu 0xfffe
	s_or_b32 exec_lo, exec_lo, s4
	v_cmp_neq_f64_e64 s3, 0xfff00000, v[37:38]
	s_mov_b32 s73, s59
	s_mov_b32 s74, s26
	s_or_b32 s81, s81, exec_lo
	v_cndmask_b32_e64 v38, 0, v38, s3
	v_cndmask_b32_e64 v37, 0, v37, s3
	s_delay_alu instid0(VALU_DEP_1) | instskip(SKIP_2) | instid1(VALU_DEP_3)
	v_add_f64_e64 v[35:36], v[35:36], -v[37:38]
	v_add_f64_e64 v[33:34], v[33:34], -v[37:38]
	;; [unrolled: 1-line block ×3, first 2 shown]
	v_mul_f64_e32 v[41:42], s[16:17], v[35:36]
	s_delay_alu instid0(VALU_DEP_3) | instskip(NEXT) | instid1(VALU_DEP_3)
	v_mul_f64_e32 v[43:44], s[16:17], v[33:34]
	v_mul_f64_e32 v[45:46], s[16:17], v[31:32]
	v_cmp_nlt_f64_e64 s3, 0x40900000, v[35:36]
	v_cmp_nlt_f64_e64 s5, 0x40900000, v[33:34]
	v_cmp_ngt_f64_e64 s4, 0xc090cc00, v[35:36]
	v_cmp_ngt_f64_e64 s6, 0xc090cc00, v[33:34]
	v_cmp_nlt_f64_e64 s7, 0x40900000, v[31:32]
	v_cmp_ngt_f64_e64 s8, 0xc090cc00, v[31:32]
	v_rndne_f64_e32 v[41:42], v[41:42]
	v_rndne_f64_e32 v[43:44], v[43:44]
	;; [unrolled: 1-line block ×3, first 2 shown]
	s_delay_alu instid0(VALU_DEP_3) | instskip(NEXT) | instid1(VALU_DEP_3)
	v_fma_f64 v[47:48], v[41:42], s[24:25], v[35:36]
	v_fma_f64 v[49:50], v[43:44], s[24:25], v[33:34]
	s_delay_alu instid0(VALU_DEP_3) | instskip(SKIP_1) | instid1(VALU_DEP_4)
	v_fma_f64 v[51:52], v[45:46], s[24:25], v[31:32]
	v_cvt_i32_f64_e32 v59, v[41:42]
	v_fma_f64 v[47:48], v[41:42], s[26:27], v[47:48]
	s_delay_alu instid0(VALU_DEP_4) | instskip(NEXT) | instid1(VALU_DEP_4)
	v_fma_f64 v[49:50], v[43:44], s[26:27], v[49:50]
	v_fma_f64 v[51:52], v[45:46], s[26:27], v[51:52]
	s_delay_alu instid0(VALU_DEP_3) | instskip(NEXT) | instid1(VALU_DEP_3)
	v_fma_f64 v[53:54], v[47:48], s[40:41], s[38:39]
	v_fma_f64 v[55:56], v[49:50], s[40:41], s[38:39]
	s_delay_alu instid0(VALU_DEP_3) | instskip(NEXT) | instid1(VALU_DEP_3)
	;; [unrolled: 3-line block ×14, first 2 shown]
	v_fma_f64 v[57:58], v[51:52], v[57:58], s[56:57]
	v_fma_f64 v[53:54], v[47:48], v[53:54], 1.0
	s_delay_alu instid0(VALU_DEP_3) | instskip(NEXT) | instid1(VALU_DEP_3)
	v_fma_f64 v[55:56], v[49:50], v[55:56], 1.0
	v_fma_f64 v[57:58], v[51:52], v[57:58], 1.0
	s_delay_alu instid0(VALU_DEP_3) | instskip(SKIP_1) | instid1(VALU_DEP_4)
	v_fma_f64 v[41:42], v[47:48], v[53:54], 1.0
	v_cvt_i32_f64_e32 v47, v[43:44]
	v_fma_f64 v[43:44], v[49:50], v[55:56], 1.0
	v_cvt_i32_f64_e32 v48, v[45:46]
	v_fma_f64 v[45:46], v[51:52], v[57:58], 1.0
	v_ldexp_f64 v[41:42], v[41:42], v59
	s_delay_alu instid0(VALU_DEP_4) | instskip(NEXT) | instid1(VALU_DEP_3)
	v_ldexp_f64 v[43:44], v[43:44], v47
	v_ldexp_f64 v[45:46], v[45:46], v48
	s_wait_alu 0xf1ff
	s_delay_alu instid0(VALU_DEP_3) | instskip(SKIP_1) | instid1(VALU_DEP_3)
	v_cndmask_b32_e64 v42, 0x7ff00000, v42, s3
	s_and_b32 s3, s4, s3
	v_cndmask_b32_e64 v35, 0x7ff00000, v44, s5
	s_wait_alu 0xfffe
	v_cndmask_b32_e64 v31, 0, v41, s3
	s_and_b32 s3, s6, s5
	v_cndmask_b32_e64 v32, 0, v42, s4
	s_wait_alu 0xfffe
	v_cndmask_b32_e64 v33, 0, v43, s3
	v_cndmask_b32_e64 v34, 0, v35, s6
	;; [unrolled: 1-line block ×3, first 2 shown]
	s_and_b32 s3, s8, s7
	s_delay_alu instid0(VALU_DEP_2) | instskip(NEXT) | instid1(VALU_DEP_2)
	v_add_f64_e32 v[31:32], v[31:32], v[33:34]
	v_cndmask_b32_e64 v34, 0, v36, s8
	s_wait_alu 0xfffe
	v_cndmask_b32_e64 v33, 0, v45, s3
	s_mov_b32 s8, s24
	s_delay_alu instid0(VALU_DEP_1) | instskip(NEXT) | instid1(VALU_DEP_1)
	v_add_f64_e32 v[31:32], v[33:34], v[31:32]
	v_frexp_mant_f64_e32 v[33:34], v[31:32]
	s_delay_alu instid0(VALU_DEP_1) | instskip(SKIP_1) | instid1(VALU_DEP_1)
	v_cmp_gt_f64_e64 s3, s[58:59], v[33:34]
	s_wait_alu 0xf1ff
	v_cndmask_b32_e64 v35, 0, 1, s3
	s_delay_alu instid0(VALU_DEP_1) | instskip(NEXT) | instid1(VALU_DEP_1)
	v_ldexp_f64 v[33:34], v[33:34], v35
	v_add_f64_e32 v[35:36], 1.0, v[33:34]
	v_add_f64_e32 v[45:46], -1.0, v[33:34]
	s_delay_alu instid0(VALU_DEP_2) | instskip(SKIP_1) | instid1(VALU_DEP_1)
	v_rcp_f64_e32 v[41:42], v[35:36]
	v_add_f64_e32 v[47:48], -1.0, v[35:36]
	v_add_f64_e64 v[33:34], v[33:34], -v[47:48]
	s_delay_alu instid0(TRANS32_DEP_1) | instskip(NEXT) | instid1(VALU_DEP_1)
	v_fma_f64 v[43:44], -v[35:36], v[41:42], 1.0
	v_fma_f64 v[41:42], v[43:44], v[41:42], v[41:42]
	s_delay_alu instid0(VALU_DEP_1) | instskip(NEXT) | instid1(VALU_DEP_1)
	v_fma_f64 v[43:44], -v[35:36], v[41:42], 1.0
	v_fma_f64 v[41:42], v[43:44], v[41:42], v[41:42]
	s_delay_alu instid0(VALU_DEP_1) | instskip(NEXT) | instid1(VALU_DEP_1)
	v_mul_f64_e32 v[43:44], v[45:46], v[41:42]
	v_mul_f64_e32 v[49:50], v[35:36], v[43:44]
	s_delay_alu instid0(VALU_DEP_1) | instskip(NEXT) | instid1(VALU_DEP_1)
	v_fma_f64 v[35:36], v[43:44], v[35:36], -v[49:50]
	v_fma_f64 v[33:34], v[43:44], v[33:34], v[35:36]
	s_delay_alu instid0(VALU_DEP_1) | instskip(NEXT) | instid1(VALU_DEP_1)
	v_add_f64_e32 v[35:36], v[49:50], v[33:34]
	v_add_f64_e64 v[47:48], v[45:46], -v[35:36]
	v_add_f64_e64 v[49:50], v[35:36], -v[49:50]
	s_delay_alu instid0(VALU_DEP_2) | instskip(NEXT) | instid1(VALU_DEP_2)
	v_add_f64_e64 v[45:46], v[45:46], -v[47:48]
	v_add_f64_e64 v[33:34], v[49:50], -v[33:34]
	v_frexp_exp_i32_f64_e32 v49, v[31:32]
	s_delay_alu instid0(VALU_DEP_3) | instskip(NEXT) | instid1(VALU_DEP_1)
	v_add_f64_e64 v[35:36], v[45:46], -v[35:36]
	v_add_f64_e32 v[33:34], v[33:34], v[35:36]
	s_delay_alu instid0(VALU_DEP_1) | instskip(NEXT) | instid1(VALU_DEP_1)
	v_add_f64_e32 v[33:34], v[47:48], v[33:34]
	v_mul_f64_e32 v[33:34], v[41:42], v[33:34]
	s_delay_alu instid0(VALU_DEP_1) | instskip(NEXT) | instid1(VALU_DEP_1)
	v_add_f64_e32 v[35:36], v[43:44], v[33:34]
	v_mul_f64_e32 v[41:42], v[35:36], v[35:36]
	s_delay_alu instid0(VALU_DEP_1) | instskip(SKIP_1) | instid1(VALU_DEP_2)
	v_fma_f64 v[45:46], v[41:42], s[62:63], s[60:61]
	v_mul_f64_e32 v[47:48], v[35:36], v[41:42]
	v_fma_f64 v[45:46], v[41:42], v[45:46], s[64:65]
	s_delay_alu instid0(VALU_DEP_1) | instskip(NEXT) | instid1(VALU_DEP_1)
	v_fma_f64 v[45:46], v[41:42], v[45:46], s[66:67]
	v_fma_f64 v[45:46], v[41:42], v[45:46], s[68:69]
	s_delay_alu instid0(VALU_DEP_1) | instskip(NEXT) | instid1(VALU_DEP_1)
	v_fma_f64 v[45:46], v[41:42], v[45:46], s[70:71]
	v_fma_f64 v[41:42], v[41:42], v[45:46], s[72:73]
	v_ldexp_f64 v[45:46], v[35:36], 1
	v_add_f64_e64 v[35:36], v[35:36], -v[43:44]
	s_delay_alu instid0(VALU_DEP_3) | instskip(SKIP_1) | instid1(VALU_DEP_3)
	v_mul_f64_e32 v[41:42], v[47:48], v[41:42]
	v_subrev_co_ci_u32_e64 v47, null, 0, v49, s3
	v_add_f64_e64 v[33:34], v[33:34], -v[35:36]
	v_cmp_class_f64_e64 s3, v[31:32], 0x204
	s_delay_alu instid0(VALU_DEP_3) | instskip(SKIP_1) | instid1(VALU_DEP_4)
	v_cvt_f64_i32_e32 v[47:48], v47
	v_add_f64_e32 v[43:44], v[45:46], v[41:42]
	v_ldexp_f64 v[33:34], v[33:34], 1
	s_wait_alu 0xfffe
	s_delay_alu instid0(VALU_DEP_3) | instskip(NEXT) | instid1(VALU_DEP_3)
	v_mul_f64_e32 v[49:50], s[8:9], v[47:48]
	v_add_f64_e64 v[35:36], v[43:44], -v[45:46]
	s_delay_alu instid0(VALU_DEP_2) | instskip(NEXT) | instid1(VALU_DEP_2)
	v_fma_f64 v[45:46], v[47:48], s[8:9], -v[49:50]
	v_add_f64_e64 v[35:36], v[41:42], -v[35:36]
	s_delay_alu instid0(VALU_DEP_2) | instskip(NEXT) | instid1(VALU_DEP_2)
	v_fma_f64 v[41:42], v[47:48], s[74:75], v[45:46]
	v_add_f64_e32 v[33:34], v[33:34], v[35:36]
	s_delay_alu instid0(VALU_DEP_2) | instskip(NEXT) | instid1(VALU_DEP_2)
	v_add_f64_e32 v[35:36], v[49:50], v[41:42]
	v_add_f64_e32 v[45:46], v[43:44], v[33:34]
	s_delay_alu instid0(VALU_DEP_2) | instskip(NEXT) | instid1(VALU_DEP_2)
	v_add_f64_e64 v[49:50], v[35:36], -v[49:50]
	v_add_f64_e32 v[47:48], v[35:36], v[45:46]
	v_add_f64_e64 v[43:44], v[45:46], -v[43:44]
	s_delay_alu instid0(VALU_DEP_3) | instskip(NEXT) | instid1(VALU_DEP_3)
	v_add_f64_e64 v[41:42], v[41:42], -v[49:50]
	v_add_f64_e64 v[51:52], v[47:48], -v[35:36]
	s_delay_alu instid0(VALU_DEP_3) | instskip(NEXT) | instid1(VALU_DEP_2)
	v_add_f64_e64 v[33:34], v[33:34], -v[43:44]
	v_add_f64_e64 v[53:54], v[47:48], -v[51:52]
	;; [unrolled: 1-line block ×3, first 2 shown]
	s_delay_alu instid0(VALU_DEP_3) | instskip(SKIP_2) | instid1(VALU_DEP_1)
	v_add_f64_e32 v[49:50], v[41:42], v[33:34]
	global_load_b64 v[45:46], v[21:22], off
	v_add_f64_e64 v[35:36], v[35:36], -v[53:54]
	v_add_f64_e32 v[35:36], v[43:44], v[35:36]
	v_add_f64_e64 v[43:44], v[49:50], -v[41:42]
	s_delay_alu instid0(VALU_DEP_2) | instskip(NEXT) | instid1(VALU_DEP_2)
	v_add_f64_e32 v[35:36], v[49:50], v[35:36]
	v_add_f64_e64 v[49:50], v[49:50], -v[43:44]
	v_add_f64_e64 v[33:34], v[33:34], -v[43:44]
	s_delay_alu instid0(VALU_DEP_3) | instskip(NEXT) | instid1(VALU_DEP_3)
	v_add_f64_e32 v[51:52], v[47:48], v[35:36]
	v_add_f64_e64 v[41:42], v[41:42], -v[49:50]
	s_delay_alu instid0(VALU_DEP_2) | instskip(NEXT) | instid1(VALU_DEP_2)
	v_add_f64_e64 v[43:44], v[51:52], -v[47:48]
	v_add_f64_e32 v[33:34], v[33:34], v[41:42]
	s_delay_alu instid0(VALU_DEP_2) | instskip(NEXT) | instid1(VALU_DEP_1)
	v_add_f64_e64 v[35:36], v[35:36], -v[43:44]
	v_add_f64_e32 v[33:34], v[33:34], v[35:36]
	s_delay_alu instid0(VALU_DEP_1) | instskip(SKIP_1) | instid1(VALU_DEP_1)
	v_add_f64_e32 v[33:34], v[51:52], v[33:34]
	s_wait_alu 0xf1ff
	v_cndmask_b32_e64 v33, v33, v31, s3
	s_delay_alu instid0(VALU_DEP_2) | instskip(SKIP_2) | instid1(VALU_DEP_1)
	v_cndmask_b32_e64 v34, v34, v32, s3
	v_cmp_ngt_f64_e64 s3, 0, v[31:32]
	s_wait_alu 0xf1ff
	v_cndmask_b32_e64 v34, 0x7ff80000, v34, s3
	v_cmp_nge_f64_e64 s3, 0, v[31:32]
	s_wait_alu 0xf1ff
	s_delay_alu instid0(VALU_DEP_1) | instskip(SKIP_2) | instid1(VALU_DEP_1)
	v_cndmask_b32_e64 v33, 0, v33, s3
	v_cmp_neq_f64_e64 s3, 0, v[31:32]
	s_wait_alu 0xf1ff
	v_cndmask_b32_e64 v34, 0xfff00000, v34, s3
	s_delay_alu instid0(VALU_DEP_1) | instskip(SKIP_1) | instid1(VALU_DEP_1)
	v_add_f64_e32 v[31:32], v[37:38], v[33:34]
	s_wait_loadcnt 0x0
	v_add_f64_e32 v[31:32], v[45:46], v[31:32]
.LBB4_41:                               ;   in Loop: Header=BB4_29 Depth=2
	s_or_b32 exec_lo, exec_lo, s82
	s_and_saveexec_b32 s4, s81
	s_cbranch_execz .LBB4_28
; %bb.42:                               ;   in Loop: Header=BB4_29 Depth=2
	v_add_co_u32 v33, s3, v29, v9
	s_wait_alu 0xf1ff
	v_add_co_ci_u32_e64 v34, null, v30, v10, s3
	global_store_b64 v[33:34], v[31:32], off
	s_branch .LBB4_28
.LBB4_43:
	s_endpgm
.LBB4_44:
                                        ; implicit-def: $sgpr2_sgpr3
	s_branch .LBB4_4
	.section	.rodata,"a",@progbits
	.p2align	6, 0x0
	.amdhsa_kernel _ZN2at6native12_GLOBAL__N_137ctc_loss_backward_log_beta_gpu_kernelIdlEEvPT_PKS3_PKllPKT0_S8_lllllllS8_lll
		.amdhsa_group_segment_fixed_size 0
		.amdhsa_private_segment_fixed_size 0
		.amdhsa_kernarg_size 392
		.amdhsa_user_sgpr_count 2
		.amdhsa_user_sgpr_dispatch_ptr 0
		.amdhsa_user_sgpr_queue_ptr 0
		.amdhsa_user_sgpr_kernarg_segment_ptr 1
		.amdhsa_user_sgpr_dispatch_id 0
		.amdhsa_user_sgpr_private_segment_size 0
		.amdhsa_wavefront_size32 1
		.amdhsa_uses_dynamic_stack 0
		.amdhsa_enable_private_segment 0
		.amdhsa_system_sgpr_workgroup_id_x 1
		.amdhsa_system_sgpr_workgroup_id_y 1
		.amdhsa_system_sgpr_workgroup_id_z 0
		.amdhsa_system_sgpr_workgroup_info 0
		.amdhsa_system_vgpr_workitem_id 1
		.amdhsa_next_free_vgpr 60
		.amdhsa_next_free_sgpr 83
		.amdhsa_reserve_vcc 1
		.amdhsa_float_round_mode_32 0
		.amdhsa_float_round_mode_16_64 0
		.amdhsa_float_denorm_mode_32 3
		.amdhsa_float_denorm_mode_16_64 3
		.amdhsa_fp16_overflow 0
		.amdhsa_workgroup_processor_mode 1
		.amdhsa_memory_ordered 1
		.amdhsa_forward_progress 1
		.amdhsa_inst_pref_size 41
		.amdhsa_round_robin_scheduling 0
		.amdhsa_exception_fp_ieee_invalid_op 0
		.amdhsa_exception_fp_denorm_src 0
		.amdhsa_exception_fp_ieee_div_zero 0
		.amdhsa_exception_fp_ieee_overflow 0
		.amdhsa_exception_fp_ieee_underflow 0
		.amdhsa_exception_fp_ieee_inexact 0
		.amdhsa_exception_int_div_zero 0
	.end_amdhsa_kernel
	.section	.text._ZN2at6native12_GLOBAL__N_137ctc_loss_backward_log_beta_gpu_kernelIdlEEvPT_PKS3_PKllPKT0_S8_lllllllS8_lll,"axG",@progbits,_ZN2at6native12_GLOBAL__N_137ctc_loss_backward_log_beta_gpu_kernelIdlEEvPT_PKS3_PKllPKT0_S8_lllllllS8_lll,comdat
.Lfunc_end4:
	.size	_ZN2at6native12_GLOBAL__N_137ctc_loss_backward_log_beta_gpu_kernelIdlEEvPT_PKS3_PKllPKT0_S8_lllllllS8_lll, .Lfunc_end4-_ZN2at6native12_GLOBAL__N_137ctc_loss_backward_log_beta_gpu_kernelIdlEEvPT_PKS3_PKllPKT0_S8_lllllllS8_lll
                                        ; -- End function
	.set _ZN2at6native12_GLOBAL__N_137ctc_loss_backward_log_beta_gpu_kernelIdlEEvPT_PKS3_PKllPKT0_S8_lllllllS8_lll.num_vgpr, 60
	.set _ZN2at6native12_GLOBAL__N_137ctc_loss_backward_log_beta_gpu_kernelIdlEEvPT_PKS3_PKllPKT0_S8_lllllllS8_lll.num_agpr, 0
	.set _ZN2at6native12_GLOBAL__N_137ctc_loss_backward_log_beta_gpu_kernelIdlEEvPT_PKS3_PKllPKT0_S8_lllllllS8_lll.numbered_sgpr, 83
	.set _ZN2at6native12_GLOBAL__N_137ctc_loss_backward_log_beta_gpu_kernelIdlEEvPT_PKS3_PKllPKT0_S8_lllllllS8_lll.num_named_barrier, 0
	.set _ZN2at6native12_GLOBAL__N_137ctc_loss_backward_log_beta_gpu_kernelIdlEEvPT_PKS3_PKllPKT0_S8_lllllllS8_lll.private_seg_size, 0
	.set _ZN2at6native12_GLOBAL__N_137ctc_loss_backward_log_beta_gpu_kernelIdlEEvPT_PKS3_PKllPKT0_S8_lllllllS8_lll.uses_vcc, 1
	.set _ZN2at6native12_GLOBAL__N_137ctc_loss_backward_log_beta_gpu_kernelIdlEEvPT_PKS3_PKllPKT0_S8_lllllllS8_lll.uses_flat_scratch, 0
	.set _ZN2at6native12_GLOBAL__N_137ctc_loss_backward_log_beta_gpu_kernelIdlEEvPT_PKS3_PKllPKT0_S8_lllllllS8_lll.has_dyn_sized_stack, 0
	.set _ZN2at6native12_GLOBAL__N_137ctc_loss_backward_log_beta_gpu_kernelIdlEEvPT_PKS3_PKllPKT0_S8_lllllllS8_lll.has_recursion, 0
	.set _ZN2at6native12_GLOBAL__N_137ctc_loss_backward_log_beta_gpu_kernelIdlEEvPT_PKS3_PKllPKT0_S8_lllllllS8_lll.has_indirect_call, 0
	.section	.AMDGPU.csdata,"",@progbits
; Kernel info:
; codeLenInByte = 5244
; TotalNumSgprs: 85
; NumVgprs: 60
; ScratchSize: 0
; MemoryBound: 0
; FloatMode: 240
; IeeeMode: 1
; LDSByteSize: 0 bytes/workgroup (compile time only)
; SGPRBlocks: 0
; VGPRBlocks: 7
; NumSGPRsForWavesPerEU: 85
; NumVGPRsForWavesPerEU: 60
; Occupancy: 16
; WaveLimiterHint : 1
; COMPUTE_PGM_RSRC2:SCRATCH_EN: 0
; COMPUTE_PGM_RSRC2:USER_SGPR: 2
; COMPUTE_PGM_RSRC2:TRAP_HANDLER: 0
; COMPUTE_PGM_RSRC2:TGID_X_EN: 1
; COMPUTE_PGM_RSRC2:TGID_Y_EN: 1
; COMPUTE_PGM_RSRC2:TGID_Z_EN: 0
; COMPUTE_PGM_RSRC2:TIDIG_COMP_CNT: 1
	.section	.text._ZN2at6native12_GLOBAL__N_145ctc_loss_backward_collect_nonblank_gpu_kernelIdlEEvPT_PKS3_lS6_S6_S6_PKlPKT0_S8_S6_llllllllllllS8_llb,"axG",@progbits,_ZN2at6native12_GLOBAL__N_145ctc_loss_backward_collect_nonblank_gpu_kernelIdlEEvPT_PKS3_lS6_S6_S6_PKlPKT0_S8_S6_llllllllllllS8_llb,comdat
	.globl	_ZN2at6native12_GLOBAL__N_145ctc_loss_backward_collect_nonblank_gpu_kernelIdlEEvPT_PKS3_lS6_S6_S6_PKlPKT0_S8_S6_llllllllllllS8_llb ; -- Begin function _ZN2at6native12_GLOBAL__N_145ctc_loss_backward_collect_nonblank_gpu_kernelIdlEEvPT_PKS3_lS6_S6_S6_PKlPKT0_S8_S6_llllllllllllS8_llb
	.p2align	8
	.type	_ZN2at6native12_GLOBAL__N_145ctc_loss_backward_collect_nonblank_gpu_kernelIdlEEvPT_PKS3_lS6_S6_S6_PKlPKT0_S8_S6_llllllllllllS8_llb,@function
_ZN2at6native12_GLOBAL__N_145ctc_loss_backward_collect_nonblank_gpu_kernelIdlEEvPT_PKS3_lS6_S6_S6_PKlPKT0_S8_S6_llllllllllllS8_llb: ; @_ZN2at6native12_GLOBAL__N_145ctc_loss_backward_collect_nonblank_gpu_kernelIdlEEvPT_PKS3_lS6_S6_S6_PKlPKT0_S8_S6_llllllllllllS8_llb
; %bb.0:
	s_clause 0x1
	s_load_b32 s2, s[0:1], 0xdc
	s_load_b128 s[4:7], s[0:1], 0xb8
	v_bfe_u32 v1, v0, 10, 10
	s_wait_kmcnt 0x0
	s_lshr_b32 s3, s2, 16
	s_delay_alu instid0(VALU_DEP_1) | instid1(SALU_CYCLE_1)
	v_mad_co_u64_u32 v[1:2], null, ttmp7, s3, v[1:2]
	v_mov_b32_e32 v2, 0
	s_mov_b32 s3, exec_lo
	s_delay_alu instid0(VALU_DEP_1)
	v_cmpx_gt_i64_e64 s[6:7], v[1:2]
	s_cbranch_execz .LBB5_7
; %bb.1:
	s_load_b64 s[6:7], s[0:1], 0x40
	v_lshlrev_b64_e32 v[8:9], 3, v[1:2]
	v_dual_mov_b32 v7, v2 :: v_dual_and_b32 v6, 0x3ff, v0
	s_and_b32 s2, s2, 0xffff
	s_wait_kmcnt 0x0
	s_delay_alu instid0(VALU_DEP_2) | instskip(NEXT) | instid1(VALU_DEP_1)
	v_add_co_u32 v3, vcc_lo, s6, v8
	v_add_co_ci_u32_e64 v4, null, s7, v9, vcc_lo
	global_load_b64 v[4:5], v[3:4], off
	s_wait_alu 0xfffe
	v_mad_co_u64_u32 v[2:3], null, s2, ttmp9, v[6:7]
	s_wait_loadcnt 0x0
	s_delay_alu instid0(VALU_DEP_1)
	v_cmp_lt_i64_e32 vcc_lo, v[2:3], v[4:5]
	s_and_b32 exec_lo, exec_lo, vcc_lo
	s_cbranch_execz .LBB5_7
; %bb.2:
	s_clause 0x2
	s_load_b64 s[2:3], s[0:1], 0x48
	s_load_b32 s8, s[0:1], 0xc8
	s_load_b64 s[6:7], s[0:1], 0x30
	s_mov_b64 s[34:35], 0
	s_wait_kmcnt 0x0
	v_add_co_u32 v4, vcc_lo, s2, v8
	s_wait_alu 0xfffd
	v_add_co_ci_u32_e64 v5, null, s3, v9, vcc_lo
	v_add_co_u32 v6, vcc_lo, s6, v8
	s_wait_alu 0xfffd
	v_add_co_ci_u32_e64 v7, null, s7, v9, vcc_lo
	global_load_b64 v[4:5], v[4:5], off
	s_bitcmp1_b32 s8, 0
	global_load_b64 v[6:7], v[6:7], off
	s_cselect_b32 s3, -1, 0
	s_wait_alu 0xfffe
	s_xor_b32 s3, s3, -1
	s_wait_loadcnt 0x1
	v_cmp_neq_f64_e32 vcc_lo, 0x7ff00000, v[4:5]
	s_wait_loadcnt 0x0
	v_cmp_lt_i64_e64 s2, 0, v[6:7]
	s_wait_alu 0xfffe
	s_or_b32 s3, s3, vcc_lo
	s_wait_alu 0xfffe
	s_and_b32 s2, s3, s2
	s_wait_alu 0xfffe
	s_and_b32 exec_lo, exec_lo, s2
	s_cbranch_execz .LBB5_7
; %bb.3:
	s_load_b64 s[2:3], s[0:1], 0xb0
	v_mul_lo_u32 v0, v3, s4
	v_mul_lo_u32 v12, v2, s5
	v_mad_co_u64_u32 v[10:11], null, v2, s4, 0
	s_load_b256 s[36:43], s[0:1], 0x0
	v_lshlrev_b64_e32 v[2:3], 1, v[2:3]
	s_mov_b32 s44, 0xfca7ab0c
	s_mov_b32 s46, 0x6a5dcb37
	;; [unrolled: 1-line block ×4, first 2 shown]
	v_add3_u32 v11, v11, v12, v0
	s_mov_b32 s52, 0x14761f6e
	s_mov_b32 s54, 0x1852b7b0
	;; [unrolled: 1-line block ×4, first 2 shown]
	v_lshlrev_b64_e32 v[10:11], 3, v[10:11]
	s_mov_b32 s47, 0x3e5ade15
	s_mov_b32 s49, 0x3ec71dee
	;; [unrolled: 1-line block ×3, first 2 shown]
	s_wait_kmcnt 0x0
	v_add_co_u32 v8, vcc_lo, s2, v8
	s_wait_alu 0xfffd
	v_add_co_ci_u32_e64 v9, null, s3, v9, vcc_lo
	s_load_b64 s[2:3], s[0:1], 0x38
	s_mov_b32 s53, 0x3f2a01a0
	s_mov_b32 s55, 0x3f56c16c
	global_load_b64 v[8:9], v[8:9], off
	s_mov_b32 s57, 0x3f811111
	s_wait_loadcnt 0x0
	v_lshlrev_b64_e32 v[8:9], 3, v[8:9]
	s_wait_kmcnt 0x0
	s_delay_alu instid0(VALU_DEP_1) | instskip(SKIP_1) | instid1(VALU_DEP_2)
	v_add_co_u32 v0, vcc_lo, s2, v8
	s_wait_alu 0xfffd
	v_add_co_ci_u32_e64 v9, null, s3, v9, vcc_lo
	s_mov_b32 s2, 0x652b82fe
	v_add_co_u32 v8, vcc_lo, v0, v10
	s_wait_alu 0xfffd
	v_add_co_ci_u32_e64 v9, null, v9, v11, vcc_lo
	v_mad_co_u64_u32 v[10:11], null, s40, v1, 0
	s_mov_b32 s3, 0x3ff71547
	global_load_b64 v[12:13], v[8:9], off
	v_mov_b32_e32 v0, v11
	s_delay_alu instid0(VALU_DEP_1) | instskip(SKIP_3) | instid1(VALU_DEP_2)
	v_mad_co_u64_u32 v[8:9], null, s41, v1, v[0:1]
	v_or_b32_e32 v0, 1, v2
	s_mov_b32 s40, 0x3b39803f
	s_mov_b32 s41, 0xbc7abc9e
	v_mov_b32_e32 v11, v8
	s_delay_alu instid0(VALU_DEP_1) | instskip(NEXT) | instid1(VALU_DEP_1)
	v_lshlrev_b64_e32 v[8:9], 3, v[10:11]
	v_add_co_u32 v8, vcc_lo, s38, v8
	s_wait_alu 0xfffd
	s_delay_alu instid0(VALU_DEP_2)
	v_add_co_ci_u32_e64 v9, null, s39, v9, vcc_lo
	s_mov_b32 s38, 0xfefa39ef
	s_mov_b32 s39, 0xbfe62e42
	global_load_b64 v[8:9], v[8:9], off
	s_clause 0x2
	s_load_b128 s[28:31], s[0:1], 0x20
	s_load_b512 s[4:19], s[0:1], 0x50
	s_load_b256 s[20:27], s[0:1], 0x90
	s_mov_b32 s1, 0
	s_wait_kmcnt 0x0
	v_mad_co_u64_u32 v[10:11], null, s6, v1, 0
	v_mad_co_u64_u32 v[14:15], null, s12, v1, 0
	v_mul_lo_u32 v22, v3, s20
	v_mul_lo_u32 v23, v0, s21
	v_mad_co_u64_u32 v[20:21], null, v0, s20, 0
	v_mad_co_u64_u32 v[16:17], null, s16, v1, 0
	;; [unrolled: 1-line block ×3, first 2 shown]
	v_mul_lo_u32 v26, v3, s26
	v_mul_lo_u32 v27, v0, s27
	v_mad_co_u64_u32 v[2:3], null, v0, s26, 0
	v_dual_mov_b32 v0, v11 :: v_dual_mov_b32 v11, v15
	v_add3_u32 v21, v21, v23, v22
	v_mov_b32_e32 v15, v17
	v_mov_b32_e32 v17, v19
	s_delay_alu instid0(VALU_DEP_4) | instskip(SKIP_4) | instid1(VALU_DEP_2)
	v_mad_co_u64_u32 v[22:23], null, s7, v1, v[0:1]
	v_add3_u32 v3, v3, v27, v26
	v_lshlrev_b64_e32 v[20:21], 3, v[20:21]
	s_mov_b32 s6, 0x555502a1
	s_mov_b32 s7, 0x3fa55555
	v_lshlrev_b64_e32 v[2:3], 3, v[2:3]
	s_wait_loadcnt 0x1
	v_mad_co_u64_u32 v[23:24], null, s13, v1, v[11:12]
	v_mad_co_u64_u32 v[24:25], null, s17, v1, v[15:16]
	;; [unrolled: 1-line block ×3, first 2 shown]
	v_mov_b32_e32 v11, v22
	v_mul_lo_u32 v25, v12, s15
	v_mov_b32_e32 v15, v23
	v_mul_lo_u32 v26, v12, s9
	v_mov_b32_e32 v17, v24
	v_lshlrev_b64_e32 v[10:11], 3, v[10:11]
	v_mov_b32_e32 v19, v0
	v_lshlrev_b64_e32 v[0:1], 3, v[14:15]
	v_mul_lo_u32 v24, v13, s14
	v_lshlrev_b64_e32 v[14:15], 3, v[16:17]
	v_mul_lo_u32 v13, v13, s8
	v_lshlrev_b64_e32 v[16:17], 3, v[18:19]
	s_mov_b32 s12, 11
	v_add_co_u32 v18, vcc_lo, s30, v0
	s_wait_alu 0xfffd
	v_add_co_ci_u32_e64 v19, null, s31, v1, vcc_lo
	v_add_co_u32 v22, vcc_lo, s36, v10
	v_mad_co_u64_u32 v[0:1], null, v12, s14, 0
	s_wait_alu 0xfffd
	v_add_co_ci_u32_e64 v23, null, s37, v11, vcc_lo
	v_mad_co_u64_u32 v[10:11], null, v12, s8, 0
	v_add_co_u32 v14, vcc_lo, s42, v14
	s_wait_alu 0xfffd
	v_add_co_ci_u32_e64 v15, null, s43, v15, vcc_lo
	v_add_co_u32 v12, vcc_lo, s28, v16
	v_add3_u32 v1, v1, v25, v24
	s_wait_alu 0xfffd
	v_add_co_ci_u32_e64 v17, null, s29, v17, vcc_lo
	v_add3_u32 v11, v11, v26, v13
	v_add_co_u32 v14, vcc_lo, v14, v20
	s_wait_alu 0xfffd
	v_add_co_ci_u32_e64 v15, null, v15, v21, vcc_lo
	v_lshlrev_b64_e32 v[0:1], 3, v[0:1]
	v_add_co_u32 v16, vcc_lo, v12, v2
	s_wait_alu 0xfffd
	v_add_co_ci_u32_e64 v17, null, v17, v3, vcc_lo
	v_lshlrev_b64_e32 v[2:3], 3, v[10:11]
	s_delay_alu instid0(VALU_DEP_4)
	v_add_co_u32 v18, vcc_lo, v18, v0
	s_wait_alu 0xfffd
	v_add_co_ci_u32_e64 v19, null, v19, v1, vcc_lo
	s_mov_b32 s8, 0x55555511
	v_add_co_u32 v20, vcc_lo, v22, v2
	s_wait_alu 0xfffd
	v_add_co_ci_u32_e64 v21, null, v23, v3, vcc_lo
	s_mov_b32 s9, 0x3fc55555
	s_mov_b32 s13, 0x3fe00000
.LBB5_4:                                ; =>This Loop Header: Depth=1
                                        ;     Child Loop BB5_5 Depth 2
	s_mul_u64 s[14:15], s[34:35], s[18:19]
	s_mul_u64 s[16:17], s[34:35], s[24:25]
	s_wait_alu 0xfffe
	s_lshl_b64 s[14:15], s[14:15], 3
	s_wait_alu 0xfffe
	v_add_co_u32 v0, vcc_lo, v14, s14
	s_wait_alu 0xfffd
	v_add_co_ci_u32_e64 v1, null, s15, v15, vcc_lo
	s_lshl_b64 s[14:15], s[16:17], 3
	s_wait_alu 0xfffe
	v_add_co_u32 v2, vcc_lo, v16, s14
	s_wait_alu 0xfffd
	v_add_co_ci_u32_e64 v3, null, s15, v17, vcc_lo
	global_load_b64 v[0:1], v[0:1], off
	global_load_b64 v[2:3], v[2:3], off
	s_mul_u64 s[14:15], s[34:35], s[10:11]
	s_wait_alu 0xfffe
	s_lshl_b64 s[14:15], s[14:15], 3
	s_wait_alu 0xfffe
	v_add_co_u32 v10, vcc_lo, v18, s14
	s_wait_alu 0xfffd
	v_add_co_ci_u32_e64 v11, null, s15, v19, vcc_lo
	s_mul_u64 s[14:15], s[34:35], s[4:5]
	s_wait_alu 0xfffe
	s_lshl_b64 s[14:15], s[14:15], 3
	global_load_b64 v[10:11], v[10:11], off
	s_wait_loadcnt 0x1
	v_add_f64_e32 v[0:1], v[0:1], v[2:3]
	s_delay_alu instid0(VALU_DEP_1) | instskip(SKIP_1) | instid1(VALU_DEP_1)
	v_add_f64_e32 v[0:1], v[4:5], v[0:1]
	s_wait_loadcnt 0x0
	v_add_f64_e64 v[0:1], v[0:1], -v[10:11]
	s_wait_alu 0xfffe
	v_add_co_u32 v10, vcc_lo, v20, s14
	s_wait_alu 0xfffd
	v_add_co_ci_u32_e64 v11, null, s15, v21, vcc_lo
	s_delay_alu instid0(VALU_DEP_3) | instskip(SKIP_2) | instid1(VALU_DEP_3)
	v_mul_f64_e32 v[2:3], s[2:3], v[0:1]
	v_cmp_nlt_f64_e32 vcc_lo, 0x40900000, v[0:1]
	v_cmp_ngt_f64_e64 s0, 0xc090cc00, v[0:1]
	v_rndne_f64_e32 v[12:13], v[2:3]
	s_delay_alu instid0(VALU_DEP_1) | instskip(SKIP_1) | instid1(VALU_DEP_2)
	v_fma_f64 v[2:3], v[12:13], s[38:39], v[0:1]
	v_cvt_i32_f64_e32 v26, v[12:13]
	v_fma_f64 v[22:23], v[12:13], s[40:41], v[2:3]
	s_delay_alu instid0(VALU_DEP_1) | instskip(NEXT) | instid1(VALU_DEP_1)
	v_fma_f64 v[2:3], v[22:23], s[46:47], s[44:45]
	v_fma_f64 v[2:3], v[22:23], v[2:3], s[48:49]
	s_delay_alu instid0(VALU_DEP_1) | instskip(NEXT) | instid1(VALU_DEP_1)
	v_fma_f64 v[2:3], v[22:23], v[2:3], s[50:51]
	;; [unrolled: 3-line block ×3, first 2 shown]
	v_fma_f64 v[24:25], v[22:23], v[2:3], s[56:57]
	global_load_b64 v[2:3], v[10:11], off
	v_fma_f64 v[24:25], v[22:23], v[24:25], s[6:7]
	s_delay_alu instid0(VALU_DEP_1) | instskip(NEXT) | instid1(VALU_DEP_1)
	v_fma_f64 v[24:25], v[22:23], v[24:25], s[8:9]
	v_fma_f64 v[24:25], v[22:23], v[24:25], s[12:13]
	s_delay_alu instid0(VALU_DEP_1) | instskip(NEXT) | instid1(VALU_DEP_1)
	v_fma_f64 v[24:25], v[22:23], v[24:25], 1.0
	v_fma_f64 v[12:13], v[22:23], v[24:25], 1.0
	s_delay_alu instid0(VALU_DEP_1) | instskip(SKIP_1) | instid1(VALU_DEP_1)
	v_ldexp_f64 v[12:13], -v[12:13], v26
	s_wait_alu 0xfffd
	v_cndmask_b32_e32 v13, 0xfff00000, v13, vcc_lo
	s_and_b32 vcc_lo, s0, vcc_lo
	s_wait_alu 0xfffe
	s_delay_alu instid0(VALU_DEP_2) | instskip(NEXT) | instid1(VALU_DEP_2)
	v_cndmask_b32_e32 v0, 0, v12, vcc_lo
	v_cndmask_b32_e64 v1, 0x80000000, v13, s0
	s_mov_b32 s0, 0
	s_delay_alu instid0(VALU_DEP_1)
	v_mul_f64_e32 v[12:13], v[8:9], v[0:1]
.LBB5_5:                                ;   Parent Loop BB5_4 Depth=1
                                        ; =>  This Inner Loop Header: Depth=2
	s_wait_loadcnt 0x0
	s_delay_alu instid0(VALU_DEP_1)
	v_add_f64_e32 v[0:1], v[2:3], v[12:13]
	global_atomic_cmpswap_b64 v[0:1], v[10:11], v[0:3], off th:TH_ATOMIC_RETURN scope:SCOPE_DEV
	s_wait_loadcnt 0x0
	v_cmp_eq_u64_e32 vcc_lo, v[0:1], v[2:3]
	v_dual_mov_b32 v3, v1 :: v_dual_mov_b32 v2, v0
	s_wait_alu 0xfffe
	s_or_b32 s0, vcc_lo, s0
	s_wait_alu 0xfffe
	s_and_not1_b32 exec_lo, exec_lo, s0
	s_cbranch_execnz .LBB5_5
; %bb.6:                                ;   in Loop: Header=BB5_4 Depth=1
	s_or_b32 exec_lo, exec_lo, s0
	s_add_nc_u64 s[34:35], s[34:35], 1
	s_wait_alu 0xfffe
	v_cmp_eq_u64_e32 vcc_lo, s[34:35], v[6:7]
	s_or_b32 s1, vcc_lo, s1
	s_wait_alu 0xfffe
	s_and_not1_b32 exec_lo, exec_lo, s1
	s_cbranch_execnz .LBB5_4
.LBB5_7:
	s_endpgm
	.section	.rodata,"a",@progbits
	.p2align	6, 0x0
	.amdhsa_kernel _ZN2at6native12_GLOBAL__N_145ctc_loss_backward_collect_nonblank_gpu_kernelIdlEEvPT_PKS3_lS6_S6_S6_PKlPKT0_S8_S6_llllllllllllS8_llb
		.amdhsa_group_segment_fixed_size 0
		.amdhsa_private_segment_fixed_size 0
		.amdhsa_kernarg_size 464
		.amdhsa_user_sgpr_count 2
		.amdhsa_user_sgpr_dispatch_ptr 0
		.amdhsa_user_sgpr_queue_ptr 0
		.amdhsa_user_sgpr_kernarg_segment_ptr 1
		.amdhsa_user_sgpr_dispatch_id 0
		.amdhsa_user_sgpr_private_segment_size 0
		.amdhsa_wavefront_size32 1
		.amdhsa_uses_dynamic_stack 0
		.amdhsa_enable_private_segment 0
		.amdhsa_system_sgpr_workgroup_id_x 1
		.amdhsa_system_sgpr_workgroup_id_y 1
		.amdhsa_system_sgpr_workgroup_id_z 0
		.amdhsa_system_sgpr_workgroup_info 0
		.amdhsa_system_vgpr_workitem_id 1
		.amdhsa_next_free_vgpr 28
		.amdhsa_next_free_sgpr 58
		.amdhsa_reserve_vcc 1
		.amdhsa_float_round_mode_32 0
		.amdhsa_float_round_mode_16_64 0
		.amdhsa_float_denorm_mode_32 3
		.amdhsa_float_denorm_mode_16_64 3
		.amdhsa_fp16_overflow 0
		.amdhsa_workgroup_processor_mode 1
		.amdhsa_memory_ordered 1
		.amdhsa_forward_progress 1
		.amdhsa_inst_pref_size 14
		.amdhsa_round_robin_scheduling 0
		.amdhsa_exception_fp_ieee_invalid_op 0
		.amdhsa_exception_fp_denorm_src 0
		.amdhsa_exception_fp_ieee_div_zero 0
		.amdhsa_exception_fp_ieee_overflow 0
		.amdhsa_exception_fp_ieee_underflow 0
		.amdhsa_exception_fp_ieee_inexact 0
		.amdhsa_exception_int_div_zero 0
	.end_amdhsa_kernel
	.section	.text._ZN2at6native12_GLOBAL__N_145ctc_loss_backward_collect_nonblank_gpu_kernelIdlEEvPT_PKS3_lS6_S6_S6_PKlPKT0_S8_S6_llllllllllllS8_llb,"axG",@progbits,_ZN2at6native12_GLOBAL__N_145ctc_loss_backward_collect_nonblank_gpu_kernelIdlEEvPT_PKS3_lS6_S6_S6_PKlPKT0_S8_S6_llllllllllllS8_llb,comdat
.Lfunc_end5:
	.size	_ZN2at6native12_GLOBAL__N_145ctc_loss_backward_collect_nonblank_gpu_kernelIdlEEvPT_PKS3_lS6_S6_S6_PKlPKT0_S8_S6_llllllllllllS8_llb, .Lfunc_end5-_ZN2at6native12_GLOBAL__N_145ctc_loss_backward_collect_nonblank_gpu_kernelIdlEEvPT_PKS3_lS6_S6_S6_PKlPKT0_S8_S6_llllllllllllS8_llb
                                        ; -- End function
	.set _ZN2at6native12_GLOBAL__N_145ctc_loss_backward_collect_nonblank_gpu_kernelIdlEEvPT_PKS3_lS6_S6_S6_PKlPKT0_S8_S6_llllllllllllS8_llb.num_vgpr, 28
	.set _ZN2at6native12_GLOBAL__N_145ctc_loss_backward_collect_nonblank_gpu_kernelIdlEEvPT_PKS3_lS6_S6_S6_PKlPKT0_S8_S6_llllllllllllS8_llb.num_agpr, 0
	.set _ZN2at6native12_GLOBAL__N_145ctc_loss_backward_collect_nonblank_gpu_kernelIdlEEvPT_PKS3_lS6_S6_S6_PKlPKT0_S8_S6_llllllllllllS8_llb.numbered_sgpr, 58
	.set _ZN2at6native12_GLOBAL__N_145ctc_loss_backward_collect_nonblank_gpu_kernelIdlEEvPT_PKS3_lS6_S6_S6_PKlPKT0_S8_S6_llllllllllllS8_llb.num_named_barrier, 0
	.set _ZN2at6native12_GLOBAL__N_145ctc_loss_backward_collect_nonblank_gpu_kernelIdlEEvPT_PKS3_lS6_S6_S6_PKlPKT0_S8_S6_llllllllllllS8_llb.private_seg_size, 0
	.set _ZN2at6native12_GLOBAL__N_145ctc_loss_backward_collect_nonblank_gpu_kernelIdlEEvPT_PKS3_lS6_S6_S6_PKlPKT0_S8_S6_llllllllllllS8_llb.uses_vcc, 1
	.set _ZN2at6native12_GLOBAL__N_145ctc_loss_backward_collect_nonblank_gpu_kernelIdlEEvPT_PKS3_lS6_S6_S6_PKlPKT0_S8_S6_llllllllllllS8_llb.uses_flat_scratch, 0
	.set _ZN2at6native12_GLOBAL__N_145ctc_loss_backward_collect_nonblank_gpu_kernelIdlEEvPT_PKS3_lS6_S6_S6_PKlPKT0_S8_S6_llllllllllllS8_llb.has_dyn_sized_stack, 0
	.set _ZN2at6native12_GLOBAL__N_145ctc_loss_backward_collect_nonblank_gpu_kernelIdlEEvPT_PKS3_lS6_S6_S6_PKlPKT0_S8_S6_llllllllllllS8_llb.has_recursion, 0
	.set _ZN2at6native12_GLOBAL__N_145ctc_loss_backward_collect_nonblank_gpu_kernelIdlEEvPT_PKS3_lS6_S6_S6_PKlPKT0_S8_S6_llllllllllllS8_llb.has_indirect_call, 0
	.section	.AMDGPU.csdata,"",@progbits
; Kernel info:
; codeLenInByte = 1792
; TotalNumSgprs: 60
; NumVgprs: 28
; ScratchSize: 0
; MemoryBound: 0
; FloatMode: 240
; IeeeMode: 1
; LDSByteSize: 0 bytes/workgroup (compile time only)
; SGPRBlocks: 0
; VGPRBlocks: 3
; NumSGPRsForWavesPerEU: 60
; NumVGPRsForWavesPerEU: 28
; Occupancy: 16
; WaveLimiterHint : 1
; COMPUTE_PGM_RSRC2:SCRATCH_EN: 0
; COMPUTE_PGM_RSRC2:USER_SGPR: 2
; COMPUTE_PGM_RSRC2:TRAP_HANDLER: 0
; COMPUTE_PGM_RSRC2:TGID_X_EN: 1
; COMPUTE_PGM_RSRC2:TGID_Y_EN: 1
; COMPUTE_PGM_RSRC2:TGID_Z_EN: 0
; COMPUTE_PGM_RSRC2:TIDIG_COMP_CNT: 1
	.section	.text._ZN2at6native12_GLOBAL__N_136ctc_loss_backward_collect_gpu_kernelIdlEEvPT_PKS3_lS6_S6_S6_PKllPKT0_S8_lS6_llllllllllllS8_llllb,"axG",@progbits,_ZN2at6native12_GLOBAL__N_136ctc_loss_backward_collect_gpu_kernelIdlEEvPT_PKS3_lS6_S6_S6_PKllPKT0_S8_lS6_llllllllllllS8_llllb,comdat
	.globl	_ZN2at6native12_GLOBAL__N_136ctc_loss_backward_collect_gpu_kernelIdlEEvPT_PKS3_lS6_S6_S6_PKllPKT0_S8_lS6_llllllllllllS8_llllb ; -- Begin function _ZN2at6native12_GLOBAL__N_136ctc_loss_backward_collect_gpu_kernelIdlEEvPT_PKS3_lS6_S6_S6_PKllPKT0_S8_lS6_llllllllllllS8_llllb
	.p2align	8
	.type	_ZN2at6native12_GLOBAL__N_136ctc_loss_backward_collect_gpu_kernelIdlEEvPT_PKS3_lS6_S6_S6_PKllPKT0_S8_lS6_llllllllllllS8_llllb,@function
_ZN2at6native12_GLOBAL__N_136ctc_loss_backward_collect_gpu_kernelIdlEEvPT_PKS3_lS6_S6_S6_PKllPKT0_S8_lS6_llllllllllllS8_llllb: ; @_ZN2at6native12_GLOBAL__N_136ctc_loss_backward_collect_gpu_kernelIdlEEvPT_PKS3_lS6_S6_S6_PKllPKT0_S8_lS6_llllllllllllS8_llllb
; %bb.0:
	s_load_b32 s4, s[0:1], 0xfc
	v_bfe_u32 v1, v0, 10, 10
	s_clause 0x1
	s_load_b64 s[2:3], s[0:1], 0x38
	s_load_b256 s[24:31], s[0:1], 0xc8
	v_and_b32_e32 v3, 0x3ff, v0
	s_wait_kmcnt 0x0
	s_lshr_b32 s5, s4, 16
	s_and_b32 s4, s4, 0xffff
	v_mad_co_u64_u32 v[1:2], null, ttmp7, s5, v[1:2]
	v_mov_b32_e32 v2, 0
	s_delay_alu instid0(VALU_DEP_1) | instskip(NEXT) | instid1(VALU_DEP_1)
	v_mov_b32_e32 v4, v2
	v_mad_co_u64_u32 v[3:4], null, s4, ttmp9, v[3:4]
	s_delay_alu instid0(VALU_DEP_1)
	v_cmp_gt_i64_e32 vcc_lo, s[2:3], v[3:4]
	v_cmp_gt_i64_e64 s2, s[26:27], v[1:2]
	s_and_b32 s2, vcc_lo, s2
	s_wait_alu 0xfffe
	s_and_saveexec_b32 s3, s2
	s_cbranch_execz .LBB6_15
; %bb.1:
	s_clause 0x2
	s_load_b64 s[4:5], s[0:1], 0x30
	s_load_b64 s[2:3], s[0:1], 0x50
	;; [unrolled: 1-line block ×3, first 2 shown]
	v_lshlrev_b64_e32 v[7:8], 3, v[1:2]
	s_load_b512 s[8:23], s[0:1], 0x60
	s_wait_kmcnt 0x0
	s_delay_alu instid0(VALU_DEP_1) | instskip(NEXT) | instid1(VALU_DEP_1)
	v_add_co_u32 v5, vcc_lo, s4, v7
	v_add_co_ci_u32_e64 v6, null, s5, v8, vcc_lo
	v_mad_co_u64_u32 v[9:10], null, s10, v1, 0
	v_cmp_lt_i64_e64 s4, s[2:3], 0
	global_load_b64 v[5:6], v[5:6], off
	v_mul_lo_u32 v2, v3, s9
	v_mov_b32_e32 v0, v10
	s_and_b32 vcc_lo, exec_lo, s4
	s_delay_alu instid0(VALU_DEP_1) | instskip(SKIP_2) | instid1(VALU_DEP_2)
	v_mad_co_u64_u32 v[10:11], null, s11, v1, v[0:1]
	v_mul_lo_u32 v0, v4, s8
	s_mov_b64 s[10:11], 0
	v_lshlrev_b64_e32 v[9:10], 3, v[9:10]
	s_wait_alu 0xfffe
	s_cbranch_vccnz .LBB6_10
; %bb.2:
	s_clause 0x3
	s_load_b64 s[34:35], s[0:1], 0xc0
	s_load_b128 s[4:7], s[0:1], 0x40
	s_load_b128 s[44:47], s[0:1], 0x18
	s_load_b256 s[36:43], s[0:1], 0xa0
	v_mul_lo_u32 v21, v4, s22
	v_mul_lo_u32 v22, v3, s23
	v_mad_co_u64_u32 v[19:20], null, v3, s8, 0
	s_mov_b32 s48, 0xfefa39ef
	s_mov_b32 s50, 0x3b39803f
	;; [unrolled: 1-line block ×6, first 2 shown]
	v_add3_u32 v20, v20, v2, v0
	s_mov_b32 s60, 0x14761f6e
	s_mov_b32 s62, 0x1852b7b0
	s_mov_b32 s64, 0x11122322
	s_mov_b32 s66, 0x555502a1
	v_lshlrev_b64_e32 v[19:20], 3, v[19:20]
	s_wait_kmcnt 0x0
	v_add_co_u32 v11, vcc_lo, s34, v7
	s_wait_alu 0xfffd
	v_add_co_ci_u32_e64 v12, null, s35, v8, vcc_lo
	v_add_co_u32 v13, vcc_lo, s6, v7
	s_wait_alu 0xfffd
	v_add_co_ci_u32_e64 v14, null, s7, v8, vcc_lo
	global_load_b64 v[15:16], v[11:12], off
	global_load_b64 v[17:18], v[13:14], off
	v_mad_co_u64_u32 v[11:12], null, s20, v1, 0
	v_mad_co_u64_u32 v[13:14], null, v3, s22, 0
	v_add_co_u32 v27, vcc_lo, s26, v9
	v_mul_lo_u32 v29, v4, s40
	v_mul_lo_u32 v30, v3, s41
	v_mad_co_u64_u32 v[25:26], null, v3, s40, 0
	v_mad_co_u64_u32 v[23:24], null, s21, v1, v[12:13]
	v_add3_u32 v14, v14, v22, v21
	v_mad_co_u64_u32 v[21:22], null, s38, v1, 0
	s_wait_alu 0xfffd
	v_add_co_ci_u32_e64 v28, null, s27, v10, vcc_lo
	s_delay_alu instid0(VALU_DEP_3) | instskip(SKIP_4) | instid1(VALU_DEP_3)
	v_lshlrev_b64_e32 v[13:14], 3, v[13:14]
	v_mov_b32_e32 v12, v23
	v_add3_u32 v26, v26, v30, v29
	s_mov_b32 s34, 0x652b82fe
	v_mad_co_u64_u32 v[22:23], null, s39, v1, v[22:23]
	v_lshlrev_b64_e32 v[11:12], 3, v[11:12]
	v_add_co_u32 v23, vcc_lo, v27, v19
	s_wait_alu 0xfffd
	v_add_co_ci_u32_e64 v24, null, v28, v20, vcc_lo
	v_lshlrev_b64_e32 v[19:20], 3, v[25:26]
	s_delay_alu instid0(VALU_DEP_4) | instskip(SKIP_3) | instid1(VALU_DEP_3)
	v_add_co_u32 v11, vcc_lo, s44, v11
	v_lshlrev_b64_e32 v[21:22], 3, v[21:22]
	s_wait_alu 0xfffd
	v_add_co_ci_u32_e64 v12, null, s45, v12, vcc_lo
	v_add_co_u32 v11, vcc_lo, v11, v13
	s_mov_b32 s68, 0x55555511
	s_wait_alu 0xfffd
	v_add_co_ci_u32_e64 v12, null, v12, v14, vcc_lo
	v_add_co_u32 v13, vcc_lo, s46, v21
	s_wait_alu 0xfffd
	v_add_co_ci_u32_e64 v14, null, s47, v22, vcc_lo
	s_mov_b32 s70, 11
	v_add_co_u32 v13, vcc_lo, v13, v19
	s_wait_alu 0xfffd
	v_add_co_ci_u32_e64 v14, null, v14, v20, vcc_lo
	s_mov_b32 s72, 0x55555555
	s_mov_b32 s74, 0x6b47b09a
	;; [unrolled: 1-line block ×7, first 2 shown]
	s_lshl_b64 s[6:7], s[2:3], 1
	s_mov_b32 s23, 0
	s_mov_b32 s35, 0x3ff71547
	;; [unrolled: 1-line block ×21, first 2 shown]
	s_lshl_b64 s[20:21], s[36:37], 3
	s_lshl_b64 s[36:37], s[42:43], 3
	s_mov_b32 s38, 0x55555780
	s_mov_b32 s41, 0x3c7abc9e
	s_wait_loadcnt 0x1
	v_lshlrev_b64_e32 v[21:22], 3, v[15:16]
	s_wait_loadcnt 0x0
	v_lshlrev_b64_e32 v[15:16], 1, v[17:18]
	s_delay_alu instid0(VALU_DEP_2) | instskip(SKIP_1) | instid1(VALU_DEP_3)
	v_add_co_u32 v25, vcc_lo, s4, v21
	s_wait_alu 0xfffd
	v_add_co_ci_u32_e64 v26, null, s5, v22, vcc_lo
	s_mov_b32 s5, 0x3fe62e42
	s_branch .LBB6_5
.LBB6_3:                                ;   in Loop: Header=BB6_5 Depth=1
	s_wait_alu 0xfffe
	s_or_b32 exec_lo, exec_lo, s22
	global_store_b64 v[17:18], v[19:20], off
.LBB6_4:                                ;   in Loop: Header=BB6_5 Depth=1
	s_wait_alu 0xfffe
	s_or_b32 exec_lo, exec_lo, s9
	s_add_nc_u64 s[10:11], s[10:11], 1
	v_add_co_u32 v11, vcc_lo, v11, s20
	s_wait_alu 0xfffe
	v_cmp_lt_i64_e64 s2, s[6:7], s[10:11]
	s_wait_alu 0xfffd
	v_add_co_ci_u32_e64 v12, null, s21, v12, vcc_lo
	v_add_co_u32 v13, vcc_lo, v13, s36
	s_wait_alu 0xfffd
	v_add_co_ci_u32_e64 v14, null, s37, v14, vcc_lo
	s_and_b32 vcc_lo, exec_lo, s2
	s_wait_alu 0xfffe
	s_cbranch_vccnz .LBB6_10
.LBB6_5:                                ; =>This Inner Loop Header: Depth=1
	s_mov_b32 s9, exec_lo
	v_cmpx_le_i64_e64 s[10:11], v[15:16]
	s_cbranch_execz .LBB6_4
; %bb.6:                                ;   in Loop: Header=BB6_5 Depth=1
	v_dual_mov_b32 v17, s30 :: v_dual_mov_b32 v18, s31
	s_and_b32 s22, s10, 1
	s_wait_alu 0xfffe
	s_cmp_eq_u64 s[22:23], 0
	s_cbranch_scc1 .LBB6_8
; %bb.7:                                ;   in Loop: Header=BB6_5 Depth=1
	s_lshr_b64 s[2:3], s[10:11], 1
	s_wait_alu 0xfffe
	s_mul_u64 s[2:3], s[24:25], s[2:3]
	s_wait_alu 0xfffe
	s_lshl_b64 s[2:3], s[2:3], 3
	s_wait_alu 0xfffe
	v_add_co_u32 v17, vcc_lo, v25, s2
	s_wait_alu 0xfffd
	v_add_co_ci_u32_e64 v18, null, s3, v26, vcc_lo
	global_load_b64 v[17:18], v[17:18], off
.LBB6_8:                                ;   in Loop: Header=BB6_5 Depth=1
	s_wait_loadcnt 0x0
	v_mul_lo_u32 v19, v18, s12
	v_mul_lo_u32 v20, v17, s13
	v_mad_co_u64_u32 v[17:18], null, v17, s12, 0
	s_mov_b32 s22, exec_lo
	v_add3_u32 v18, v18, v20, v19
	s_delay_alu instid0(VALU_DEP_1) | instskip(NEXT) | instid1(VALU_DEP_1)
	v_lshlrev_b64_e32 v[17:18], 3, v[17:18]
	v_add_co_u32 v17, vcc_lo, v23, v17
	s_wait_alu 0xfffd
	s_delay_alu instid0(VALU_DEP_2)
	v_add_co_ci_u32_e64 v18, null, v24, v18, vcc_lo
	global_load_b64 v[19:20], v[11:12], off
	global_load_b64 v[27:28], v[13:14], off
	;; [unrolled: 1-line block ×3, first 2 shown]
	s_wait_loadcnt 0x1
	v_add_f64_e32 v[19:20], v[19:20], v[27:28]
	s_wait_loadcnt 0x0
	v_cmpx_neq_f64_e32 0xfff00000, v[21:22]
	s_cbranch_execz .LBB6_3
; %bb.9:                                ;   in Loop: Header=BB6_5 Depth=1
	s_delay_alu instid0(VALU_DEP_2) | instskip(SKIP_4) | instid1(VALU_DEP_1)
	v_cmp_gt_f64_e32 vcc_lo, v[21:22], v[19:20]
	s_mov_b32 s39, s73
	s_mov_b32 s40, s50
	s_wait_alu 0xfffd
	v_dual_cndmask_b32 v28, v20, v22 :: v_dual_cndmask_b32 v27, v19, v21
	v_add_f64_e64 v[21:22], v[21:22], -v[27:28]
	v_add_f64_e64 v[19:20], v[19:20], -v[27:28]
	s_delay_alu instid0(VALU_DEP_2) | instskip(NEXT) | instid1(VALU_DEP_2)
	v_mul_f64_e32 v[29:30], s[34:35], v[21:22]
	v_mul_f64_e32 v[31:32], s[34:35], v[19:20]
	v_cmp_nlt_f64_e32 vcc_lo, 0x40900000, v[21:22]
	v_cmp_nlt_f64_e64 s3, 0x40900000, v[19:20]
	v_cmp_ngt_f64_e64 s2, 0xc090cc00, v[21:22]
	v_cmp_ngt_f64_e64 s4, 0xc090cc00, v[19:20]
	v_rndne_f64_e32 v[29:30], v[29:30]
	v_rndne_f64_e32 v[31:32], v[31:32]
	s_delay_alu instid0(VALU_DEP_2) | instskip(NEXT) | instid1(VALU_DEP_2)
	v_fma_f64 v[33:34], v[29:30], s[48:49], v[21:22]
	v_fma_f64 v[35:36], v[31:32], s[48:49], v[19:20]
	v_cvt_i32_f64_e32 v41, v[29:30]
	s_delay_alu instid0(VALU_DEP_3) | instskip(NEXT) | instid1(VALU_DEP_3)
	v_fma_f64 v[33:34], v[29:30], s[50:51], v[33:34]
	v_fma_f64 v[35:36], v[31:32], s[50:51], v[35:36]
	s_delay_alu instid0(VALU_DEP_2) | instskip(NEXT) | instid1(VALU_DEP_2)
	v_fma_f64 v[37:38], v[33:34], s[54:55], s[52:53]
	v_fma_f64 v[39:40], v[35:36], s[54:55], s[52:53]
	s_delay_alu instid0(VALU_DEP_2) | instskip(NEXT) | instid1(VALU_DEP_2)
	;; [unrolled: 3-line block ×10, first 2 shown]
	v_fma_f64 v[37:38], v[33:34], v[37:38], 1.0
	v_fma_f64 v[39:40], v[35:36], v[39:40], 1.0
	s_delay_alu instid0(VALU_DEP_2) | instskip(SKIP_1) | instid1(VALU_DEP_3)
	v_fma_f64 v[29:30], v[33:34], v[37:38], 1.0
	v_cvt_i32_f64_e32 v33, v[31:32]
	v_fma_f64 v[31:32], v[35:36], v[39:40], 1.0
	s_delay_alu instid0(VALU_DEP_3) | instskip(NEXT) | instid1(VALU_DEP_2)
	v_ldexp_f64 v[29:30], v[29:30], v41
	v_ldexp_f64 v[31:32], v[31:32], v33
	s_wait_alu 0xfffd
	s_delay_alu instid0(VALU_DEP_2) | instskip(SKIP_1) | instid1(VALU_DEP_2)
	v_cndmask_b32_e32 v30, 0x7ff00000, v30, vcc_lo
	s_and_b32 vcc_lo, s2, vcc_lo
	v_cndmask_b32_e64 v21, 0x7ff00000, v32, s3
	s_wait_alu 0xfffe
	s_delay_alu instid0(VALU_DEP_4)
	v_cndmask_b32_e32 v19, 0, v29, vcc_lo
	s_and_b32 vcc_lo, s4, s3
	v_cndmask_b32_e64 v20, 0, v30, s2
	v_cndmask_b32_e64 v22, 0, v21, s4
	s_wait_alu 0xfffe
	v_cndmask_b32_e32 v21, 0, v31, vcc_lo
	s_mov_b32 s4, s48
	s_delay_alu instid0(VALU_DEP_1) | instskip(NEXT) | instid1(VALU_DEP_1)
	v_add_f64_e32 v[19:20], v[19:20], v[21:22]
	v_frexp_mant_f64_e32 v[21:22], v[19:20]
	s_delay_alu instid0(VALU_DEP_1) | instskip(SKIP_2) | instid1(VALU_DEP_1)
	v_cmp_gt_f64_e32 vcc_lo, s[72:73], v[21:22]
	s_wait_alu 0xfffd
	v_cndmask_b32_e64 v29, 0, 1, vcc_lo
	v_ldexp_f64 v[21:22], v[21:22], v29
	s_delay_alu instid0(VALU_DEP_1) | instskip(SKIP_1) | instid1(VALU_DEP_2)
	v_add_f64_e32 v[29:30], 1.0, v[21:22]
	v_add_f64_e32 v[35:36], -1.0, v[21:22]
	v_rcp_f64_e32 v[31:32], v[29:30]
	v_add_f64_e32 v[37:38], -1.0, v[29:30]
	s_delay_alu instid0(VALU_DEP_1) | instskip(NEXT) | instid1(TRANS32_DEP_1)
	v_add_f64_e64 v[21:22], v[21:22], -v[37:38]
	v_fma_f64 v[33:34], -v[29:30], v[31:32], 1.0
	s_delay_alu instid0(VALU_DEP_1) | instskip(NEXT) | instid1(VALU_DEP_1)
	v_fma_f64 v[31:32], v[33:34], v[31:32], v[31:32]
	v_fma_f64 v[33:34], -v[29:30], v[31:32], 1.0
	s_delay_alu instid0(VALU_DEP_1) | instskip(NEXT) | instid1(VALU_DEP_1)
	v_fma_f64 v[31:32], v[33:34], v[31:32], v[31:32]
	v_mul_f64_e32 v[33:34], v[35:36], v[31:32]
	s_delay_alu instid0(VALU_DEP_1) | instskip(NEXT) | instid1(VALU_DEP_1)
	v_mul_f64_e32 v[39:40], v[29:30], v[33:34]
	v_fma_f64 v[29:30], v[33:34], v[29:30], -v[39:40]
	s_delay_alu instid0(VALU_DEP_1) | instskip(NEXT) | instid1(VALU_DEP_1)
	v_fma_f64 v[21:22], v[33:34], v[21:22], v[29:30]
	v_add_f64_e32 v[29:30], v[39:40], v[21:22]
	s_delay_alu instid0(VALU_DEP_1) | instskip(SKIP_1) | instid1(VALU_DEP_2)
	v_add_f64_e64 v[37:38], v[35:36], -v[29:30]
	v_add_f64_e64 v[39:40], v[29:30], -v[39:40]
	;; [unrolled: 1-line block ×3, first 2 shown]
	s_delay_alu instid0(VALU_DEP_2) | instskip(SKIP_1) | instid1(VALU_DEP_3)
	v_add_f64_e64 v[21:22], v[39:40], -v[21:22]
	v_frexp_exp_i32_f64_e32 v39, v[19:20]
	v_add_f64_e64 v[29:30], v[35:36], -v[29:30]
	s_delay_alu instid0(VALU_DEP_1) | instskip(NEXT) | instid1(VALU_DEP_1)
	v_add_f64_e32 v[21:22], v[21:22], v[29:30]
	v_add_f64_e32 v[21:22], v[37:38], v[21:22]
	s_delay_alu instid0(VALU_DEP_1) | instskip(NEXT) | instid1(VALU_DEP_1)
	v_mul_f64_e32 v[21:22], v[31:32], v[21:22]
	v_add_f64_e32 v[29:30], v[33:34], v[21:22]
	s_delay_alu instid0(VALU_DEP_1) | instskip(NEXT) | instid1(VALU_DEP_1)
	v_mul_f64_e32 v[31:32], v[29:30], v[29:30]
	v_fma_f64 v[35:36], v[31:32], s[76:77], s[74:75]
	v_mul_f64_e32 v[37:38], v[29:30], v[31:32]
	s_delay_alu instid0(VALU_DEP_2) | instskip(NEXT) | instid1(VALU_DEP_1)
	v_fma_f64 v[35:36], v[31:32], v[35:36], s[78:79]
	v_fma_f64 v[35:36], v[31:32], v[35:36], s[80:81]
	s_delay_alu instid0(VALU_DEP_1) | instskip(NEXT) | instid1(VALU_DEP_1)
	v_fma_f64 v[35:36], v[31:32], v[35:36], s[82:83]
	v_fma_f64 v[35:36], v[31:32], v[35:36], s[84:85]
	s_delay_alu instid0(VALU_DEP_1) | instskip(SKIP_2) | instid1(VALU_DEP_3)
	v_fma_f64 v[31:32], v[31:32], v[35:36], s[38:39]
	v_ldexp_f64 v[35:36], v[29:30], 1
	v_add_f64_e64 v[29:30], v[29:30], -v[33:34]
	v_mul_f64_e32 v[31:32], v[37:38], v[31:32]
	v_subrev_co_ci_u32_e64 v37, null, 0, v39, vcc_lo
	s_delay_alu instid0(VALU_DEP_3) | instskip(SKIP_1) | instid1(VALU_DEP_3)
	v_add_f64_e64 v[21:22], v[21:22], -v[29:30]
	v_cmp_class_f64_e64 vcc_lo, v[19:20], 0x204
	v_cvt_f64_i32_e32 v[37:38], v37
	v_add_f64_e32 v[33:34], v[35:36], v[31:32]
	s_delay_alu instid0(VALU_DEP_4) | instskip(SKIP_1) | instid1(VALU_DEP_3)
	v_ldexp_f64 v[21:22], v[21:22], 1
	s_wait_alu 0xfffe
	v_mul_f64_e32 v[39:40], s[4:5], v[37:38]
	s_delay_alu instid0(VALU_DEP_3) | instskip(NEXT) | instid1(VALU_DEP_2)
	v_add_f64_e64 v[29:30], v[33:34], -v[35:36]
	v_fma_f64 v[35:36], v[37:38], s[4:5], -v[39:40]
	s_delay_alu instid0(VALU_DEP_2) | instskip(NEXT) | instid1(VALU_DEP_2)
	v_add_f64_e64 v[29:30], v[31:32], -v[29:30]
	v_fma_f64 v[31:32], v[37:38], s[40:41], v[35:36]
	s_delay_alu instid0(VALU_DEP_2) | instskip(NEXT) | instid1(VALU_DEP_2)
	v_add_f64_e32 v[21:22], v[21:22], v[29:30]
	v_add_f64_e32 v[29:30], v[39:40], v[31:32]
	s_delay_alu instid0(VALU_DEP_2) | instskip(NEXT) | instid1(VALU_DEP_2)
	v_add_f64_e32 v[35:36], v[33:34], v[21:22]
	v_add_f64_e64 v[39:40], v[29:30], -v[39:40]
	s_delay_alu instid0(VALU_DEP_2) | instskip(SKIP_1) | instid1(VALU_DEP_3)
	v_add_f64_e32 v[37:38], v[29:30], v[35:36]
	v_add_f64_e64 v[33:34], v[35:36], -v[33:34]
	v_add_f64_e64 v[31:32], v[31:32], -v[39:40]
	s_delay_alu instid0(VALU_DEP_3) | instskip(NEXT) | instid1(VALU_DEP_3)
	v_add_f64_e64 v[41:42], v[37:38], -v[29:30]
	v_add_f64_e64 v[21:22], v[21:22], -v[33:34]
	s_delay_alu instid0(VALU_DEP_2) | instskip(SKIP_1) | instid1(VALU_DEP_3)
	v_add_f64_e64 v[43:44], v[37:38], -v[41:42]
	v_add_f64_e64 v[33:34], v[35:36], -v[41:42]
	v_add_f64_e32 v[35:36], v[31:32], v[21:22]
	s_delay_alu instid0(VALU_DEP_3) | instskip(NEXT) | instid1(VALU_DEP_1)
	v_add_f64_e64 v[29:30], v[29:30], -v[43:44]
	v_add_f64_e32 v[29:30], v[33:34], v[29:30]
	s_delay_alu instid0(VALU_DEP_3) | instskip(NEXT) | instid1(VALU_DEP_2)
	v_add_f64_e64 v[33:34], v[35:36], -v[31:32]
	v_add_f64_e32 v[29:30], v[35:36], v[29:30]
	s_delay_alu instid0(VALU_DEP_2) | instskip(SKIP_1) | instid1(VALU_DEP_3)
	v_add_f64_e64 v[35:36], v[35:36], -v[33:34]
	v_add_f64_e64 v[21:22], v[21:22], -v[33:34]
	v_add_f64_e32 v[39:40], v[37:38], v[29:30]
	s_delay_alu instid0(VALU_DEP_3) | instskip(NEXT) | instid1(VALU_DEP_2)
	v_add_f64_e64 v[31:32], v[31:32], -v[35:36]
	v_add_f64_e64 v[33:34], v[39:40], -v[37:38]
	s_delay_alu instid0(VALU_DEP_2) | instskip(NEXT) | instid1(VALU_DEP_2)
	v_add_f64_e32 v[21:22], v[21:22], v[31:32]
	v_add_f64_e64 v[29:30], v[29:30], -v[33:34]
	s_delay_alu instid0(VALU_DEP_1) | instskip(NEXT) | instid1(VALU_DEP_1)
	v_add_f64_e32 v[21:22], v[21:22], v[29:30]
	v_add_f64_e32 v[21:22], v[39:40], v[21:22]
	s_wait_alu 0xfffd
	s_delay_alu instid0(VALU_DEP_1) | instskip(SKIP_2) | instid1(VALU_DEP_2)
	v_dual_cndmask_b32 v21, v21, v19 :: v_dual_cndmask_b32 v22, v22, v20
	v_cmp_ngt_f64_e32 vcc_lo, 0, v[19:20]
	s_wait_alu 0xfffd
	v_cndmask_b32_e32 v22, 0x7ff80000, v22, vcc_lo
	v_cmp_nge_f64_e32 vcc_lo, 0, v[19:20]
	s_wait_alu 0xfffd
	v_cndmask_b32_e32 v21, 0, v21, vcc_lo
	v_cmp_neq_f64_e32 vcc_lo, 0, v[19:20]
	s_wait_alu 0xfffd
	v_cndmask_b32_e32 v22, 0xfff00000, v22, vcc_lo
	s_delay_alu instid0(VALU_DEP_1)
	v_add_f64_e32 v[19:20], v[27:28], v[21:22]
	s_branch .LBB6_3
.LBB6_10:
	v_cmp_lt_i64_e64 s2, s[28:29], 1
	s_and_b32 vcc_lo, exec_lo, s2
	s_wait_alu 0xfffe
	s_cbranch_vccnz .LBB6_15
; %bb.11:
	s_clause 0x2
	s_load_b64 s[2:3], s[0:1], 0x58
	s_load_b128 s[4:7], s[0:1], 0x8
	s_load_b32 s33, s[0:1], 0xe8
	v_mad_co_u64_u32 v[15:16], null, v3, s8, 0
	v_mul_lo_u32 v17, v4, s14
	v_mul_lo_u32 v18, v3, s15
	s_mov_b32 s8, 0x3b39803f
	s_mov_b32 s10, 0xfca7ab0c
	;; [unrolled: 1-line block ×4, first 2 shown]
	s_delay_alu instid0(VALU_DEP_3)
	v_add3_u32 v16, v16, v2, v0
	s_mov_b32 s24, 0x14761f6e
	s_mov_b32 s30, 0x11122322
	;; [unrolled: 1-line block ×8, first 2 shown]
	s_wait_kmcnt 0x0
	v_add_co_u32 v7, vcc_lo, s2, v7
	s_wait_alu 0xfffd
	v_add_co_ci_u32_e64 v8, null, s3, v8, vcc_lo
	v_mad_co_u64_u32 v[11:12], null, s6, v1, 0
	s_load_b64 s[2:3], s[0:1], 0x28
	global_load_b64 v[7:8], v[7:8], off
	s_bitcmp1_b32 s33, 0
	s_mov_b32 s25, 0x3f2a01a0
	s_cselect_b32 s33, -1, 0
	s_mov_b32 s31, 0x3f811111
	v_mad_co_u64_u32 v[12:13], null, s7, v1, v[12:13]
	v_mad_co_u64_u32 v[13:14], null, s16, v1, 0
	s_mov_b32 s6, 0xfefa39ef
	s_mov_b32 s7, 0xbfe62e42
	;; [unrolled: 1-line block ×4, first 2 shown]
	v_lshlrev_b64_e32 v[11:12], 3, v[11:12]
	s_lshl_b64 s[18:19], s[18:19], 3
	s_lshl_b64 s[12:13], s[12:13], 3
	s_delay_alu instid0(VALU_DEP_1) | instskip(SKIP_1) | instid1(VALU_DEP_2)
	v_add_co_u32 v11, vcc_lo, s4, v11
	s_wait_alu 0xfffd
	v_add_co_ci_u32_e64 v12, null, s5, v12, vcc_lo
	v_add_co_u32 v9, vcc_lo, s26, v9
	s_wait_alu 0xfffd
	v_add_co_ci_u32_e64 v10, null, s27, v10, vcc_lo
	global_load_b64 v[11:12], v[11:12], off
	s_wait_loadcnt 0x2
	v_cmp_lt_i64_e32 vcc_lo, v[3:4], v[5:6]
	v_mov_b32_e32 v5, v14
	v_mad_co_u64_u32 v[3:4], null, v3, s14, 0
	s_mov_b32 s4, 0x652b82fe
	s_mov_b32 s14, 0x6a5dcb37
	v_mad_co_u64_u32 v[5:6], null, s17, v1, v[5:6]
	v_lshlrev_b64_e32 v[0:1], 3, v[15:16]
	s_mov_b32 s26, 0x1852b7b0
	v_add3_u32 v4, v4, v18, v17
	s_mov_b32 s16, 0x555502a1
	s_mov_b32 s5, 0x3ff71547
	;; [unrolled: 1-line block ×3, first 2 shown]
	s_delay_alu instid0(VALU_DEP_3)
	v_mov_b32_e32 v14, v5
	v_lshlrev_b64_e32 v[2:3], 3, v[3:4]
	v_add_co_u32 v0, s1, v9, v0
	s_wait_alu 0xf1ff
	v_add_co_ci_u32_e64 v1, null, v10, v1, s1
	v_lshlrev_b64_e32 v[4:5], 3, v[13:14]
	s_mov_b32 s27, 0x3f56c16c
	s_mov_b32 s17, 0x3fa55555
	s_wait_kmcnt 0x0
	s_delay_alu instid0(VALU_DEP_1)
	v_add_co_u32 v4, s1, s2, v4
	s_wait_alu 0xf1ff
	v_add_co_ci_u32_e64 v5, null, s3, v5, s1
	s_xor_b32 s2, s33, -1
	v_add_co_u32 v2, s1, v4, v2
	s_wait_alu 0xf1ff
	v_add_co_ci_u32_e64 v3, null, v5, v3, s1
	s_wait_loadcnt 0x1
	v_cmp_neq_f64_e64 s0, 0x7ff00000, v[7:8]
	s_wait_alu 0xfffe
	s_or_b32 s0, s2, s0
	s_wait_alu 0xfffe
	s_and_b32 s3, vcc_lo, s0
	s_branch .LBB6_13
.LBB6_12:                               ;   in Loop: Header=BB6_13 Depth=1
	s_or_b32 exec_lo, exec_lo, s33
	v_add_co_u32 v2, vcc_lo, v2, s18
	global_store_b64 v[0:1], v[4:5], off
	s_wait_alu 0xfffd
	v_add_co_ci_u32_e64 v3, null, s19, v3, vcc_lo
	v_add_co_u32 v0, vcc_lo, v0, s12
	s_wait_alu 0xfffd
	v_add_co_ci_u32_e64 v1, null, s13, v1, vcc_lo
	s_add_nc_u64 s[28:29], s[28:29], -1
	s_wait_alu 0xfffe
	s_cmp_lg_u64 s[28:29], 0
	s_cbranch_scc0 .LBB6_15
.LBB6_13:                               ; =>This Inner Loop Header: Depth=1
	v_mov_b32_e32 v4, 0
	v_mov_b32_e32 v5, 0
	s_wait_alu 0xfffe
	s_and_saveexec_b32 s33, s3
	s_cbranch_execz .LBB6_12
; %bb.14:                               ;   in Loop: Header=BB6_13 Depth=1
	global_load_b64 v[4:5], v[0:1], off
	global_load_b64 v[9:10], v[2:3], off
	s_wait_loadcnt 0x1
	v_add_f64_e32 v[4:5], v[7:8], v[4:5]
	s_wait_loadcnt 0x0
	v_mul_f64_e32 v[13:14], s[4:5], v[9:10]
	v_cmp_nlt_f64_e32 vcc_lo, 0x40900000, v[9:10]
	v_cmp_ngt_f64_e64 s0, 0xc090cc00, v[9:10]
	s_delay_alu instid0(VALU_DEP_4) | instskip(NEXT) | instid1(VALU_DEP_4)
	v_add_f64_e64 v[4:5], v[4:5], -v[9:10]
	v_rndne_f64_e32 v[13:14], v[13:14]
	s_delay_alu instid0(VALU_DEP_2) | instskip(NEXT) | instid1(VALU_DEP_2)
	v_mul_f64_e32 v[15:16], s[4:5], v[4:5]
	v_fma_f64 v[17:18], v[13:14], s[6:7], v[9:10]
	v_cvt_i32_f64_e32 v6, v[13:14]
	v_cmp_nlt_f64_e64 s1, 0x40900000, v[4:5]
	v_cmp_ngt_f64_e64 s2, 0xc090cc00, v[4:5]
	v_rndne_f64_e32 v[15:16], v[15:16]
	v_fma_f64 v[17:18], v[13:14], s[8:9], v[17:18]
	s_delay_alu instid0(VALU_DEP_2) | instskip(NEXT) | instid1(VALU_DEP_2)
	v_fma_f64 v[19:20], v[15:16], s[6:7], v[4:5]
	v_fma_f64 v[21:22], v[17:18], s[14:15], s[10:11]
	s_delay_alu instid0(VALU_DEP_2) | instskip(NEXT) | instid1(VALU_DEP_2)
	v_fma_f64 v[19:20], v[15:16], s[8:9], v[19:20]
	v_fma_f64 v[21:22], v[17:18], v[21:22], s[20:21]
	s_delay_alu instid0(VALU_DEP_2) | instskip(NEXT) | instid1(VALU_DEP_2)
	v_fma_f64 v[23:24], v[19:20], s[14:15], s[10:11]
	v_fma_f64 v[21:22], v[17:18], v[21:22], s[22:23]
	s_delay_alu instid0(VALU_DEP_2) | instskip(NEXT) | instid1(VALU_DEP_2)
	v_fma_f64 v[23:24], v[19:20], v[23:24], s[20:21]
	v_fma_f64 v[21:22], v[17:18], v[21:22], s[24:25]
	s_delay_alu instid0(VALU_DEP_2) | instskip(NEXT) | instid1(VALU_DEP_2)
	v_fma_f64 v[23:24], v[19:20], v[23:24], s[22:23]
	v_fma_f64 v[21:22], v[17:18], v[21:22], s[26:27]
	s_delay_alu instid0(VALU_DEP_2) | instskip(NEXT) | instid1(VALU_DEP_2)
	v_fma_f64 v[23:24], v[19:20], v[23:24], s[24:25]
	v_fma_f64 v[21:22], v[17:18], v[21:22], s[30:31]
	s_delay_alu instid0(VALU_DEP_2) | instskip(NEXT) | instid1(VALU_DEP_2)
	v_fma_f64 v[23:24], v[19:20], v[23:24], s[26:27]
	v_fma_f64 v[21:22], v[17:18], v[21:22], s[16:17]
	s_delay_alu instid0(VALU_DEP_2) | instskip(NEXT) | instid1(VALU_DEP_2)
	v_fma_f64 v[23:24], v[19:20], v[23:24], s[30:31]
	v_fma_f64 v[21:22], v[17:18], v[21:22], s[34:35]
	s_delay_alu instid0(VALU_DEP_2) | instskip(NEXT) | instid1(VALU_DEP_2)
	v_fma_f64 v[23:24], v[19:20], v[23:24], s[16:17]
	v_fma_f64 v[21:22], v[17:18], v[21:22], s[36:37]
	s_delay_alu instid0(VALU_DEP_2) | instskip(NEXT) | instid1(VALU_DEP_2)
	v_fma_f64 v[23:24], v[19:20], v[23:24], s[34:35]
	v_fma_f64 v[21:22], v[17:18], v[21:22], 1.0
	s_delay_alu instid0(VALU_DEP_2) | instskip(NEXT) | instid1(VALU_DEP_2)
	v_fma_f64 v[23:24], v[19:20], v[23:24], s[36:37]
	v_fma_f64 v[13:14], v[17:18], v[21:22], 1.0
	v_cvt_i32_f64_e32 v17, v[15:16]
	s_delay_alu instid0(VALU_DEP_3) | instskip(NEXT) | instid1(VALU_DEP_3)
	v_fma_f64 v[23:24], v[19:20], v[23:24], 1.0
	v_ldexp_f64 v[13:14], v[13:14], v6
	s_delay_alu instid0(VALU_DEP_2) | instskip(SKIP_1) | instid1(VALU_DEP_2)
	v_fma_f64 v[15:16], v[19:20], v[23:24], 1.0
	s_wait_alu 0xfffd
	v_cndmask_b32_e32 v6, 0x7ff00000, v14, vcc_lo
	s_and_b32 vcc_lo, s0, vcc_lo
	s_delay_alu instid0(VALU_DEP_1) | instskip(NEXT) | instid1(VALU_DEP_3)
	v_cndmask_b32_e64 v5, 0, v6, s0
	v_ldexp_f64 v[15:16], v[15:16], v17
	s_wait_alu 0xfffe
	v_cndmask_b32_e32 v4, 0, v13, vcc_lo
	s_and_b32 vcc_lo, s2, s1
	s_delay_alu instid0(VALU_DEP_2) | instskip(NEXT) | instid1(VALU_DEP_1)
	v_cndmask_b32_e64 v9, 0x7ff00000, v16, s1
	v_cndmask_b32_e64 v10, 0, v9, s2
	s_wait_alu 0xfffe
	s_delay_alu instid0(VALU_DEP_4) | instskip(NEXT) | instid1(VALU_DEP_1)
	v_cndmask_b32_e32 v9, 0, v15, vcc_lo
	v_add_f64_e64 v[4:5], v[4:5], -v[9:10]
	s_delay_alu instid0(VALU_DEP_1)
	v_mul_f64_e32 v[4:5], v[11:12], v[4:5]
	s_branch .LBB6_12
.LBB6_15:
	s_endpgm
	.section	.rodata,"a",@progbits
	.p2align	6, 0x0
	.amdhsa_kernel _ZN2at6native12_GLOBAL__N_136ctc_loss_backward_collect_gpu_kernelIdlEEvPT_PKS3_lS6_S6_S6_PKllPKT0_S8_lS6_llllllllllllS8_llllb
		.amdhsa_group_segment_fixed_size 0
		.amdhsa_private_segment_fixed_size 0
		.amdhsa_kernarg_size 496
		.amdhsa_user_sgpr_count 2
		.amdhsa_user_sgpr_dispatch_ptr 0
		.amdhsa_user_sgpr_queue_ptr 0
		.amdhsa_user_sgpr_kernarg_segment_ptr 1
		.amdhsa_user_sgpr_dispatch_id 0
		.amdhsa_user_sgpr_private_segment_size 0
		.amdhsa_wavefront_size32 1
		.amdhsa_uses_dynamic_stack 0
		.amdhsa_enable_private_segment 0
		.amdhsa_system_sgpr_workgroup_id_x 1
		.amdhsa_system_sgpr_workgroup_id_y 1
		.amdhsa_system_sgpr_workgroup_id_z 0
		.amdhsa_system_sgpr_workgroup_info 0
		.amdhsa_system_vgpr_workitem_id 1
		.amdhsa_next_free_vgpr 45
		.amdhsa_next_free_sgpr 86
		.amdhsa_reserve_vcc 1
		.amdhsa_float_round_mode_32 0
		.amdhsa_float_round_mode_16_64 0
		.amdhsa_float_denorm_mode_32 3
		.amdhsa_float_denorm_mode_16_64 3
		.amdhsa_fp16_overflow 0
		.amdhsa_workgroup_processor_mode 1
		.amdhsa_memory_ordered 1
		.amdhsa_forward_progress 1
		.amdhsa_inst_pref_size 29
		.amdhsa_round_robin_scheduling 0
		.amdhsa_exception_fp_ieee_invalid_op 0
		.amdhsa_exception_fp_denorm_src 0
		.amdhsa_exception_fp_ieee_div_zero 0
		.amdhsa_exception_fp_ieee_overflow 0
		.amdhsa_exception_fp_ieee_underflow 0
		.amdhsa_exception_fp_ieee_inexact 0
		.amdhsa_exception_int_div_zero 0
	.end_amdhsa_kernel
	.section	.text._ZN2at6native12_GLOBAL__N_136ctc_loss_backward_collect_gpu_kernelIdlEEvPT_PKS3_lS6_S6_S6_PKllPKT0_S8_lS6_llllllllllllS8_llllb,"axG",@progbits,_ZN2at6native12_GLOBAL__N_136ctc_loss_backward_collect_gpu_kernelIdlEEvPT_PKS3_lS6_S6_S6_PKllPKT0_S8_lS6_llllllllllllS8_llllb,comdat
.Lfunc_end6:
	.size	_ZN2at6native12_GLOBAL__N_136ctc_loss_backward_collect_gpu_kernelIdlEEvPT_PKS3_lS6_S6_S6_PKllPKT0_S8_lS6_llllllllllllS8_llllb, .Lfunc_end6-_ZN2at6native12_GLOBAL__N_136ctc_loss_backward_collect_gpu_kernelIdlEEvPT_PKS3_lS6_S6_S6_PKllPKT0_S8_lS6_llllllllllllS8_llllb
                                        ; -- End function
	.set _ZN2at6native12_GLOBAL__N_136ctc_loss_backward_collect_gpu_kernelIdlEEvPT_PKS3_lS6_S6_S6_PKllPKT0_S8_lS6_llllllllllllS8_llllb.num_vgpr, 45
	.set _ZN2at6native12_GLOBAL__N_136ctc_loss_backward_collect_gpu_kernelIdlEEvPT_PKS3_lS6_S6_S6_PKllPKT0_S8_lS6_llllllllllllS8_llllb.num_agpr, 0
	.set _ZN2at6native12_GLOBAL__N_136ctc_loss_backward_collect_gpu_kernelIdlEEvPT_PKS3_lS6_S6_S6_PKllPKT0_S8_lS6_llllllllllllS8_llllb.numbered_sgpr, 86
	.set _ZN2at6native12_GLOBAL__N_136ctc_loss_backward_collect_gpu_kernelIdlEEvPT_PKS3_lS6_S6_S6_PKllPKT0_S8_lS6_llllllllllllS8_llllb.num_named_barrier, 0
	.set _ZN2at6native12_GLOBAL__N_136ctc_loss_backward_collect_gpu_kernelIdlEEvPT_PKS3_lS6_S6_S6_PKllPKT0_S8_lS6_llllllllllllS8_llllb.private_seg_size, 0
	.set _ZN2at6native12_GLOBAL__N_136ctc_loss_backward_collect_gpu_kernelIdlEEvPT_PKS3_lS6_S6_S6_PKllPKT0_S8_lS6_llllllllllllS8_llllb.uses_vcc, 1
	.set _ZN2at6native12_GLOBAL__N_136ctc_loss_backward_collect_gpu_kernelIdlEEvPT_PKS3_lS6_S6_S6_PKllPKT0_S8_lS6_llllllllllllS8_llllb.uses_flat_scratch, 0
	.set _ZN2at6native12_GLOBAL__N_136ctc_loss_backward_collect_gpu_kernelIdlEEvPT_PKS3_lS6_S6_S6_PKllPKT0_S8_lS6_llllllllllllS8_llllb.has_dyn_sized_stack, 0
	.set _ZN2at6native12_GLOBAL__N_136ctc_loss_backward_collect_gpu_kernelIdlEEvPT_PKS3_lS6_S6_S6_PKllPKT0_S8_lS6_llllllllllllS8_llllb.has_recursion, 0
	.set _ZN2at6native12_GLOBAL__N_136ctc_loss_backward_collect_gpu_kernelIdlEEvPT_PKS3_lS6_S6_S6_PKllPKT0_S8_lS6_llllllllllllS8_llllb.has_indirect_call, 0
	.section	.AMDGPU.csdata,"",@progbits
; Kernel info:
; codeLenInByte = 3700
; TotalNumSgprs: 88
; NumVgprs: 45
; ScratchSize: 0
; MemoryBound: 0
; FloatMode: 240
; IeeeMode: 1
; LDSByteSize: 0 bytes/workgroup (compile time only)
; SGPRBlocks: 0
; VGPRBlocks: 5
; NumSGPRsForWavesPerEU: 88
; NumVGPRsForWavesPerEU: 45
; Occupancy: 16
; WaveLimiterHint : 1
; COMPUTE_PGM_RSRC2:SCRATCH_EN: 0
; COMPUTE_PGM_RSRC2:USER_SGPR: 2
; COMPUTE_PGM_RSRC2:TRAP_HANDLER: 0
; COMPUTE_PGM_RSRC2:TGID_X_EN: 1
; COMPUTE_PGM_RSRC2:TGID_Y_EN: 1
; COMPUTE_PGM_RSRC2:TGID_Z_EN: 0
; COMPUTE_PGM_RSRC2:TIDIG_COMP_CNT: 1
	.section	.text._ZN2at6native12_GLOBAL__N_130ctc_loss_zero_padded_gradientsIdEEvPT_PKlllllll,"axG",@progbits,_ZN2at6native12_GLOBAL__N_130ctc_loss_zero_padded_gradientsIdEEvPT_PKlllllll,comdat
	.globl	_ZN2at6native12_GLOBAL__N_130ctc_loss_zero_padded_gradientsIdEEvPT_PKlllllll ; -- Begin function _ZN2at6native12_GLOBAL__N_130ctc_loss_zero_padded_gradientsIdEEvPT_PKlllllll
	.p2align	8
	.type	_ZN2at6native12_GLOBAL__N_130ctc_loss_zero_padded_gradientsIdEEvPT_PKlllllll,@function
_ZN2at6native12_GLOBAL__N_130ctc_loss_zero_padded_gradientsIdEEvPT_PKlllllll: ; @_ZN2at6native12_GLOBAL__N_130ctc_loss_zero_padded_gradientsIdEEvPT_PKlllllll
; %bb.0:
	s_load_b32 s2, s[0:1], 0x4c
	v_bfe_u32 v1, v0, 10, 10
	s_clause 0x1
	s_load_b128 s[12:15], s[0:1], 0x30
	s_load_b256 s[4:11], s[0:1], 0x10
	v_and_b32_e32 v3, 0x3ff, v0
	s_wait_kmcnt 0x0
	s_lshr_b32 s3, s2, 16
	s_and_b32 s2, s2, 0xffff
	v_mad_co_u64_u32 v[1:2], null, ttmp7, s3, v[1:2]
	v_mov_b32_e32 v2, 0
	s_delay_alu instid0(VALU_DEP_1) | instskip(NEXT) | instid1(VALU_DEP_3)
	v_mov_b32_e32 v4, v2
	v_cmp_gt_i64_e32 vcc_lo, s[12:13], v[1:2]
	s_delay_alu instid0(VALU_DEP_2) | instskip(NEXT) | instid1(VALU_DEP_1)
	v_mad_co_u64_u32 v[3:4], null, s2, ttmp9, v[3:4]
	v_cmp_gt_i64_e64 s2, s[10:11], v[3:4]
	s_and_b32 s2, vcc_lo, s2
	s_wait_alu 0xfffe
	s_and_saveexec_b32 s3, s2
	s_cbranch_execz .LBB7_4
; %bb.1:
	s_load_b64 s[2:3], s[0:1], 0x8
	v_lshlrev_b64_e32 v[5:6], 3, v[1:2]
	v_cvt_f64_u32_e32 v[8:9], v4
	v_cvt_f64_u32_e32 v[10:11], v3
	v_cmp_gt_i64_e64 s10, s[14:15], 0
	s_wait_kmcnt 0x0
	s_delay_alu instid0(VALU_DEP_4) | instskip(NEXT) | instid1(VALU_DEP_1)
	v_add_co_u32 v5, vcc_lo, s2, v5
	v_add_co_ci_u32_e64 v6, null, s3, v6, vcc_lo
	s_mov_b64 s[2:3], 0
	global_load_b64 v[5:6], v[5:6], off
	s_wait_loadcnt 0x0
	v_cvt_f64_i32_e32 v[6:7], v6
	v_cvt_f64_u32_e32 v[12:13], v5
	s_delay_alu instid0(VALU_DEP_2) | instskip(SKIP_1) | instid1(VALU_DEP_2)
	v_ldexp_f64 v[5:6], v[6:7], 32
	v_ldexp_f64 v[7:8], v[8:9], 32
	v_add_f64_e32 v[5:6], v[5:6], v[12:13]
	s_delay_alu instid0(VALU_DEP_2) | instskip(NEXT) | instid1(VALU_DEP_1)
	v_add_f64_e32 v[7:8], v[7:8], v[10:11]
	v_cmp_ge_f64_e32 vcc_lo, v[7:8], v[5:6]
	s_and_b32 s10, vcc_lo, s10
	s_wait_alu 0xfffe
	s_and_b32 exec_lo, exec_lo, s10
	s_cbranch_execz .LBB7_4
; %bb.2:
	v_mad_co_u64_u32 v[5:6], null, s6, v1, 0
	s_load_b64 s[0:1], s[0:1], 0x0
	v_mul_lo_u32 v4, v4, s4
	v_mul_lo_u32 v7, v3, s5
	v_mad_co_u64_u32 v[2:3], null, v3, s4, 0
	v_mov_b32_e32 v0, v6
	s_delay_alu instid0(VALU_DEP_2) | instskip(NEXT) | instid1(VALU_DEP_2)
	v_add3_u32 v3, v3, v7, v4
	v_mad_co_u64_u32 v[0:1], null, s7, v1, v[0:1]
	s_delay_alu instid0(VALU_DEP_1) | instskip(NEXT) | instid1(VALU_DEP_3)
	v_mov_b32_e32 v6, v0
	v_lshlrev_b64_e32 v[0:1], 3, v[2:3]
	s_delay_alu instid0(VALU_DEP_2) | instskip(SKIP_1) | instid1(VALU_DEP_2)
	v_lshlrev_b64_e32 v[2:3], 3, v[5:6]
	s_wait_kmcnt 0x0
	v_add_co_u32 v4, vcc_lo, s0, v0
	s_wait_alu 0xfffd
	s_delay_alu instid0(VALU_DEP_3) | instskip(SKIP_1) | instid1(VALU_DEP_3)
	v_add_co_ci_u32_e64 v1, null, s1, v1, vcc_lo
	v_mov_b32_e32 v0, 0
	v_add_co_u32 v2, vcc_lo, v4, v2
	s_wait_alu 0xfffd
	s_delay_alu instid0(VALU_DEP_3) | instskip(NEXT) | instid1(VALU_DEP_3)
	v_add_co_ci_u32_e64 v3, null, v1, v3, vcc_lo
	v_mov_b32_e32 v1, v0
	s_lshl_b64 s[0:1], s[8:9], 3
.LBB7_3:                                ; =>This Inner Loop Header: Depth=1
	s_add_nc_u64 s[2:3], s[2:3], 1
	global_store_b64 v[2:3], v[0:1], off
	s_wait_alu 0xfffe
	v_cmp_gt_i64_e64 s4, s[14:15], s[2:3]
	v_add_co_u32 v2, vcc_lo, v2, s0
	s_wait_alu 0xfffd
	v_add_co_ci_u32_e64 v3, null, s1, v3, vcc_lo
	s_and_b32 vcc_lo, exec_lo, s4
	s_wait_alu 0xfffe
	s_cbranch_vccnz .LBB7_3
.LBB7_4:
	s_endpgm
	.section	.rodata,"a",@progbits
	.p2align	6, 0x0
	.amdhsa_kernel _ZN2at6native12_GLOBAL__N_130ctc_loss_zero_padded_gradientsIdEEvPT_PKlllllll
		.amdhsa_group_segment_fixed_size 0
		.amdhsa_private_segment_fixed_size 0
		.amdhsa_kernarg_size 320
		.amdhsa_user_sgpr_count 2
		.amdhsa_user_sgpr_dispatch_ptr 0
		.amdhsa_user_sgpr_queue_ptr 0
		.amdhsa_user_sgpr_kernarg_segment_ptr 1
		.amdhsa_user_sgpr_dispatch_id 0
		.amdhsa_user_sgpr_private_segment_size 0
		.amdhsa_wavefront_size32 1
		.amdhsa_uses_dynamic_stack 0
		.amdhsa_enable_private_segment 0
		.amdhsa_system_sgpr_workgroup_id_x 1
		.amdhsa_system_sgpr_workgroup_id_y 1
		.amdhsa_system_sgpr_workgroup_id_z 0
		.amdhsa_system_sgpr_workgroup_info 0
		.amdhsa_system_vgpr_workitem_id 1
		.amdhsa_next_free_vgpr 14
		.amdhsa_next_free_sgpr 16
		.amdhsa_reserve_vcc 1
		.amdhsa_float_round_mode_32 0
		.amdhsa_float_round_mode_16_64 0
		.amdhsa_float_denorm_mode_32 3
		.amdhsa_float_denorm_mode_16_64 3
		.amdhsa_fp16_overflow 0
		.amdhsa_workgroup_processor_mode 1
		.amdhsa_memory_ordered 1
		.amdhsa_forward_progress 1
		.amdhsa_inst_pref_size 4
		.amdhsa_round_robin_scheduling 0
		.amdhsa_exception_fp_ieee_invalid_op 0
		.amdhsa_exception_fp_denorm_src 0
		.amdhsa_exception_fp_ieee_div_zero 0
		.amdhsa_exception_fp_ieee_overflow 0
		.amdhsa_exception_fp_ieee_underflow 0
		.amdhsa_exception_fp_ieee_inexact 0
		.amdhsa_exception_int_div_zero 0
	.end_amdhsa_kernel
	.section	.text._ZN2at6native12_GLOBAL__N_130ctc_loss_zero_padded_gradientsIdEEvPT_PKlllllll,"axG",@progbits,_ZN2at6native12_GLOBAL__N_130ctc_loss_zero_padded_gradientsIdEEvPT_PKlllllll,comdat
.Lfunc_end7:
	.size	_ZN2at6native12_GLOBAL__N_130ctc_loss_zero_padded_gradientsIdEEvPT_PKlllllll, .Lfunc_end7-_ZN2at6native12_GLOBAL__N_130ctc_loss_zero_padded_gradientsIdEEvPT_PKlllllll
                                        ; -- End function
	.set _ZN2at6native12_GLOBAL__N_130ctc_loss_zero_padded_gradientsIdEEvPT_PKlllllll.num_vgpr, 14
	.set _ZN2at6native12_GLOBAL__N_130ctc_loss_zero_padded_gradientsIdEEvPT_PKlllllll.num_agpr, 0
	.set _ZN2at6native12_GLOBAL__N_130ctc_loss_zero_padded_gradientsIdEEvPT_PKlllllll.numbered_sgpr, 16
	.set _ZN2at6native12_GLOBAL__N_130ctc_loss_zero_padded_gradientsIdEEvPT_PKlllllll.num_named_barrier, 0
	.set _ZN2at6native12_GLOBAL__N_130ctc_loss_zero_padded_gradientsIdEEvPT_PKlllllll.private_seg_size, 0
	.set _ZN2at6native12_GLOBAL__N_130ctc_loss_zero_padded_gradientsIdEEvPT_PKlllllll.uses_vcc, 1
	.set _ZN2at6native12_GLOBAL__N_130ctc_loss_zero_padded_gradientsIdEEvPT_PKlllllll.uses_flat_scratch, 0
	.set _ZN2at6native12_GLOBAL__N_130ctc_loss_zero_padded_gradientsIdEEvPT_PKlllllll.has_dyn_sized_stack, 0
	.set _ZN2at6native12_GLOBAL__N_130ctc_loss_zero_padded_gradientsIdEEvPT_PKlllllll.has_recursion, 0
	.set _ZN2at6native12_GLOBAL__N_130ctc_loss_zero_padded_gradientsIdEEvPT_PKlllllll.has_indirect_call, 0
	.section	.AMDGPU.csdata,"",@progbits
; Kernel info:
; codeLenInByte = 464
; TotalNumSgprs: 18
; NumVgprs: 14
; ScratchSize: 0
; MemoryBound: 0
; FloatMode: 240
; IeeeMode: 1
; LDSByteSize: 0 bytes/workgroup (compile time only)
; SGPRBlocks: 0
; VGPRBlocks: 1
; NumSGPRsForWavesPerEU: 18
; NumVGPRsForWavesPerEU: 14
; Occupancy: 16
; WaveLimiterHint : 0
; COMPUTE_PGM_RSRC2:SCRATCH_EN: 0
; COMPUTE_PGM_RSRC2:USER_SGPR: 2
; COMPUTE_PGM_RSRC2:TRAP_HANDLER: 0
; COMPUTE_PGM_RSRC2:TGID_X_EN: 1
; COMPUTE_PGM_RSRC2:TGID_Y_EN: 1
; COMPUTE_PGM_RSRC2:TGID_Z_EN: 0
; COMPUTE_PGM_RSRC2:TIDIG_COMP_CNT: 1
	.section	.text._ZN2at6native12_GLOBAL__N_137ctc_loss_backward_log_beta_gpu_kernelIdiEEvPT_PKS3_PKllPKT0_S8_lllllllS8_lll,"axG",@progbits,_ZN2at6native12_GLOBAL__N_137ctc_loss_backward_log_beta_gpu_kernelIdiEEvPT_PKS3_PKllPKT0_S8_lllllllS8_lll,comdat
	.globl	_ZN2at6native12_GLOBAL__N_137ctc_loss_backward_log_beta_gpu_kernelIdiEEvPT_PKS3_PKllPKT0_S8_lllllllS8_lll ; -- Begin function _ZN2at6native12_GLOBAL__N_137ctc_loss_backward_log_beta_gpu_kernelIdiEEvPT_PKS3_PKllPKT0_S8_lllllllS8_lll
	.p2align	8
	.type	_ZN2at6native12_GLOBAL__N_137ctc_loss_backward_log_beta_gpu_kernelIdiEEvPT_PKS3_PKllPKT0_S8_lllllllS8_lll,@function
_ZN2at6native12_GLOBAL__N_137ctc_loss_backward_log_beta_gpu_kernelIdiEEvPT_PKS3_PKllPKT0_S8_lllllllS8_lll: ; @_ZN2at6native12_GLOBAL__N_137ctc_loss_backward_log_beta_gpu_kernelIdiEEvPT_PKS3_PKllPKT0_S8_lllllllS8_lll
; %bb.0:
	s_clause 0x1
	s_load_u16 s2, s[0:1], 0x96
	s_load_b128 s[20:23], s[0:1], 0x70
	v_bfe_u32 v1, v0, 10, 10
	s_wait_kmcnt 0x0
	s_delay_alu instid0(VALU_DEP_1) | instskip(SKIP_2) | instid1(VALU_DEP_1)
	v_mad_co_u64_u32 v[9:10], null, ttmp7, s2, v[1:2]
	v_mov_b32_e32 v10, 0
	s_mov_b32 s2, exec_lo
	v_cmpx_gt_i64_e64 s[22:23], v[9:10]
	s_cbranch_execz .LBB8_43
; %bb.1:
	s_load_b64 s[2:3], s[0:1], 0x10
	v_lshlrev_b64_e32 v[3:4], 3, v[9:10]
	s_wait_kmcnt 0x0
	s_delay_alu instid0(VALU_DEP_1) | instskip(NEXT) | instid1(VALU_DEP_1)
	v_add_co_u32 v1, vcc_lo, s2, v3
	v_add_co_ci_u32_e64 v2, null, s3, v4, vcc_lo
	global_load_b64 v[1:2], v[1:2], off
	s_wait_loadcnt 0x0
	v_cmp_ne_u64_e32 vcc_lo, 0, v[1:2]
	s_and_b32 exec_lo, exec_lo, vcc_lo
	s_cbranch_execz .LBB8_43
; %bb.2:
	s_clause 0x1
	s_load_b64 s[2:3], s[0:1], 0x28
	s_load_b64 s[4:5], s[0:1], 0x68
	s_mov_b32 s23, 0
	s_wait_kmcnt 0x0
	v_add_co_u32 v5, vcc_lo, s2, v3
	s_wait_alu 0xfffd
	v_add_co_ci_u32_e64 v6, null, s3, v4, vcc_lo
	v_add_co_u32 v3, vcc_lo, s4, v3
	s_wait_alu 0xfffd
	v_add_co_ci_u32_e64 v4, null, s5, v4, vcc_lo
	global_load_b64 v[11:12], v[5:6], off
	global_load_b64 v[7:8], v[3:4], off
	s_load_b256 s[4:11], s[0:1], 0x30
	s_add_nc_u64 s[2:3], s[0:1], 0x88
	s_load_b32 s12, s[2:3], 0xc
	s_mov_b32 s2, s23
	s_wait_kmcnt 0x0
	s_lshl_b64 s[28:29], s[4:5], 1
	s_delay_alu instid0(SALU_CYCLE_1)
	s_mov_b32 s3, s29
	s_and_b32 s22, s12, 0xffff
	s_wait_alu 0xfffe
	s_cmp_lg_u64 s[2:3], 0
	s_cbranch_scc0 .LBB8_44
; %bb.3:
	s_add_nc_u64 s[2:3], s[22:23], 0
	s_mov_b32 s15, s23
	s_wait_alu 0xfffe
	s_xor_b64 s[2:3], s[2:3], 0
	s_mov_b32 s19, s23
	s_wait_alu 0xfffe
	s_cvt_f32_u32 s4, s2
	s_cvt_f32_u32 s5, s3
	s_sub_nc_u64 s[12:13], 0, s[2:3]
	s_wait_alu 0xfffe
	s_delay_alu instid0(SALU_CYCLE_1) | instskip(SKIP_1) | instid1(SALU_CYCLE_2)
	s_fmamk_f32 s4, s5, 0x4f800000, s4
	s_wait_alu 0xfffe
	v_s_rcp_f32 s4, s4
	s_delay_alu instid0(TRANS32_DEP_1) | instskip(SKIP_1) | instid1(SALU_CYCLE_2)
	s_mul_f32 s4, s4, 0x5f7ffffc
	s_wait_alu 0xfffe
	s_mul_f32 s5, s4, 0x2f800000
	s_wait_alu 0xfffe
	s_delay_alu instid0(SALU_CYCLE_2) | instskip(SKIP_1) | instid1(SALU_CYCLE_2)
	s_trunc_f32 s5, s5
	s_wait_alu 0xfffe
	s_fmamk_f32 s4, s5, 0xcf800000, s4
	s_cvt_u32_f32 s5, s5
	s_wait_alu 0xfffe
	s_delay_alu instid0(SALU_CYCLE_1) | instskip(SKIP_1) | instid1(SALU_CYCLE_2)
	s_cvt_u32_f32 s4, s4
	s_wait_alu 0xfffe
	s_mul_u64 s[16:17], s[12:13], s[4:5]
	s_delay_alu instid0(SALU_CYCLE_1)
	s_mul_hi_u32 s25, s4, s17
	s_mul_i32 s24, s4, s17
	s_mul_hi_u32 s14, s4, s16
	s_mul_i32 s26, s5, s16
	s_add_nc_u64 s[14:15], s[14:15], s[24:25]
	s_mul_hi_u32 s18, s5, s16
	s_mul_hi_u32 s27, s5, s17
	s_add_co_u32 s14, s14, s26
	s_add_co_ci_u32 s18, s15, s18
	s_mul_i32 s16, s5, s17
	s_add_co_ci_u32 s17, s27, 0
	s_delay_alu instid0(SALU_CYCLE_1) | instskip(SKIP_3) | instid1(SALU_CYCLE_1)
	s_add_nc_u64 s[14:15], s[18:19], s[16:17]
	s_mov_b32 s17, s23
	s_add_co_u32 s4, s4, s14
	s_cselect_b32 s14, -1, 0
	s_cmp_lg_u32 s14, 0
	s_add_co_ci_u32 s5, s5, s15
	s_mov_b32 s15, s23
	s_wait_alu 0xfffe
	s_mul_u64 s[12:13], s[12:13], s[4:5]
	s_delay_alu instid0(SALU_CYCLE_1)
	s_mul_hi_u32 s19, s4, s13
	s_mul_i32 s18, s4, s13
	s_mul_hi_u32 s14, s4, s12
	s_mul_i32 s24, s5, s12
	s_add_nc_u64 s[14:15], s[14:15], s[18:19]
	s_mul_hi_u32 s16, s5, s12
	s_mul_hi_u32 s25, s5, s13
	s_mul_i32 s12, s5, s13
	s_add_co_u32 s13, s14, s24
	s_add_co_ci_u32 s16, s15, s16
	s_add_co_ci_u32 s13, s25, 0
	s_mov_b32 s15, s23
	s_add_nc_u64 s[12:13], s[16:17], s[12:13]
	s_delay_alu instid0(SALU_CYCLE_1)
	s_add_co_u32 s16, s4, s12
	s_cselect_b32 s4, -1, 0
	s_wait_alu 0xfffe
	s_cmp_lg_u32 s4, 0
	s_add_co_ci_u32 s24, s5, s13
	s_ashr_i32 s4, s29, 31
	s_wait_alu 0xfffe
	s_mov_b32 s5, s4
	s_wait_alu 0xfffe
	s_add_nc_u64 s[12:13], s[28:29], s[4:5]
	s_delay_alu instid0(SALU_CYCLE_1) | instskip(NEXT) | instid1(SALU_CYCLE_1)
	s_xor_b64 s[12:13], s[12:13], s[4:5]
	s_mul_hi_u32 s19, s12, s24
	s_mul_i32 s18, s12, s24
	s_mul_hi_u32 s14, s12, s16
	s_mul_hi_u32 s26, s13, s16
	s_mul_i32 s16, s13, s16
	s_add_nc_u64 s[14:15], s[14:15], s[18:19]
	s_mul_hi_u32 s25, s13, s24
	s_add_co_u32 s14, s14, s16
	s_add_co_ci_u32 s16, s15, s26
	s_mul_i32 s18, s13, s24
	s_add_co_ci_u32 s19, s25, 0
	s_delay_alu instid0(SALU_CYCLE_1) | instskip(NEXT) | instid1(SALU_CYCLE_1)
	s_add_nc_u64 s[14:15], s[16:17], s[18:19]
	s_mul_u64 s[14:15], s[2:3], s[14:15]
	s_delay_alu instid0(SALU_CYCLE_1)
	s_sub_co_u32 s12, s12, s14
	s_cselect_b32 s14, -1, 0
	s_sub_co_i32 s16, s13, s15
	s_cmp_lg_u32 s14, 0
	s_sub_co_ci_u32 s16, s16, s3
	s_sub_co_u32 s17, s12, s2
	s_cselect_b32 s18, -1, 0
	s_delay_alu instid0(SALU_CYCLE_1) | instskip(SKIP_1) | instid1(SALU_CYCLE_1)
	s_cmp_lg_u32 s18, 0
	s_sub_co_ci_u32 s19, s16, 0
	s_cmp_ge_u32 s19, s3
	s_cselect_b32 s24, -1, 0
	s_cmp_ge_u32 s17, s2
	s_cselect_b32 s25, -1, 0
	s_cmp_eq_u32 s19, s3
	s_cselect_b32 s24, s25, s24
	s_cmp_lg_u32 s18, 0
	s_sub_co_ci_u32 s16, s16, s3
	s_sub_co_u32 s18, s17, s2
	s_cselect_b32 s25, -1, 0
	s_delay_alu instid0(SALU_CYCLE_1)
	s_cmp_lg_u32 s25, 0
	s_sub_co_ci_u32 s16, s16, 0
	s_cmp_lg_u32 s24, 0
	s_cselect_b32 s17, s18, s17
	s_cselect_b32 s16, s16, s19
	s_cmp_lg_u32 s14, 0
	s_sub_co_ci_u32 s13, s13, s15
	s_delay_alu instid0(SALU_CYCLE_1)
	s_cmp_ge_u32 s13, s3
	s_cselect_b32 s14, -1, 0
	s_cmp_ge_u32 s12, s2
	s_cselect_b32 s2, -1, 0
	s_cmp_eq_u32 s13, s3
	s_wait_alu 0xfffe
	s_cselect_b32 s2, s2, s14
	s_wait_alu 0xfffe
	s_cmp_lg_u32 s2, 0
	s_cselect_b32 s3, s16, s13
	s_cselect_b32 s2, s17, s12
	s_wait_alu 0xfffe
	s_xor_b64 s[2:3], s[2:3], s[4:5]
	s_wait_alu 0xfffe
	s_sub_nc_u64 s[2:3], s[2:3], s[4:5]
	s_mov_b32 s4, s23
	s_wait_alu 0xfffe
	s_and_not1_b32 vcc_lo, exec_lo, s4
	s_wait_alu 0xfffe
	s_cbranch_vccnz .LBB8_5
.LBB8_4:
	v_cvt_f32_u32_e32 v3, s22
	s_sub_co_i32 s3, 0, s22
	s_delay_alu instid0(VALU_DEP_1) | instskip(NEXT) | instid1(TRANS32_DEP_1)
	v_rcp_iflag_f32_e32 v3, v3
	v_mul_f32_e32 v3, 0x4f7ffffe, v3
	s_delay_alu instid0(VALU_DEP_1) | instskip(NEXT) | instid1(VALU_DEP_1)
	v_cvt_u32_f32_e32 v3, v3
	v_readfirstlane_b32 s2, v3
	s_wait_alu 0xfffe
	s_mul_i32 s3, s3, s2
	s_wait_alu 0xfffe
	s_mul_hi_u32 s3, s2, s3
	s_wait_alu 0xfffe
	s_add_co_i32 s2, s2, s3
	s_wait_alu 0xfffe
	s_mul_hi_u32 s2, s28, s2
	s_wait_alu 0xfffe
	s_mul_i32 s2, s2, s22
	s_wait_alu 0xfffe
	s_sub_co_i32 s2, s28, s2
	s_wait_alu 0xfffe
	s_sub_co_i32 s3, s2, s22
	s_cmp_ge_u32 s2, s22
	s_wait_alu 0xfffe
	s_cselect_b32 s2, s3, s2
	s_mov_b32 s3, 0
	s_wait_alu 0xfffe
	s_sub_co_i32 s4, s2, s22
	s_cmp_ge_u32 s2, s22
	s_wait_alu 0xfffe
	s_cselect_b32 s2, s4, s2
.LBB8_5:
	s_wait_alu 0xfffe
	s_sub_nc_u64 s[30:31], s[28:29], s[2:3]
	s_delay_alu instid0(SALU_CYCLE_1)
	v_cmp_lt_i64_e64 s4, s[30:31], 0
	s_and_b32 vcc_lo, exec_lo, s4
	s_wait_alu 0xfffe
	s_cbranch_vccnz .LBB8_43
; %bb.6:
	v_mad_co_u64_u32 v[13:14], null, s8, v9, 0
	s_clause 0x2
	s_load_b64 s[34:35], s[0:1], 0x80
	s_load_b128 s[24:27], s[0:1], 0x0
	s_load_b64 s[4:5], s[0:1], 0x20
	v_add_co_u32 v3, vcc_lo, v1, -1
	s_wait_alu 0xfffd
	v_add_co_ci_u32_e64 v4, null, -1, v2, vcc_lo
	s_load_b256 s[12:19], s[0:1], 0x50
	v_dual_mov_b32 v5, v14 :: v_dual_and_b32 v0, 0x3ff, v0
	v_mul_lo_u32 v10, v4, s6
	v_mul_lo_u32 v19, v3, s7
	s_wait_loadcnt 0x0
	v_lshlrev_b64_e32 v[17:18], 2, v[7:8]
	v_mad_co_u64_u32 v[14:15], null, s9, v9, v[5:6]
	v_mad_co_u64_u32 v[15:16], null, v3, s6, 0
	v_lshlrev_b64_e32 v[5:6], 1, v[11:12]
	s_delay_alu instid0(VALU_DEP_1) | instskip(NEXT) | instid1(VALU_DEP_3)
	v_add_co_u32 v7, vcc_lo, v5, -1
	v_add3_u32 v16, v16, v19, v10
	v_lshlrev_b64_e32 v[19:20], 3, v[13:14]
	s_wait_alu 0xfffd
	s_delay_alu instid0(VALU_DEP_4)
	v_add_co_ci_u32_e64 v8, null, -1, v6, vcc_lo
	s_wait_kmcnt 0x0
	v_add_co_u32 v39, vcc_lo, s4, v17
	v_lshlrev_b64_e32 v[13:14], 3, v[15:16]
	s_wait_alu 0xfffd
	v_add_co_ci_u32_e64 v40, null, s5, v18, vcc_lo
	v_add_co_u32 v10, vcc_lo, s26, v19
	s_wait_alu 0xfffd
	v_add_co_ci_u32_e64 v15, null, s27, v20, vcc_lo
	v_add_co_u32 v16, s4, s28, v0
	s_delay_alu instid0(VALU_DEP_3)
	v_add_co_u32 v31, vcc_lo, v10, v13
	s_wait_alu 0xf1ff
	v_add_co_ci_u32_e64 v10, null, s29, 0, s4
	v_mad_co_u64_u32 v[21:22], null, s12, v9, 0
	s_wait_alu 0xfffd
	v_add_co_ci_u32_e64 v32, null, v15, v14, vcc_lo
	v_sub_co_u32 v13, vcc_lo, v16, s2
	s_wait_alu 0xfffd
	v_subrev_co_ci_u32_e64 v14, null, s3, v10, vcc_lo
	v_mul_lo_u32 v26, s15, v3
	s_delay_alu instid0(VALU_DEP_3) | instskip(SKIP_1) | instid1(VALU_DEP_4)
	v_mul_lo_u32 v24, s17, v13
	v_mad_co_u64_u32 v[15:16], null, s16, v13, 0
	v_mul_lo_u32 v25, s16, v14
	v_mul_lo_u32 v27, s14, v4
	v_mad_co_u64_u32 v[17:18], null, s14, v3, 0
	v_mov_b32_e32 v10, v22
	v_alignbit_b32 v23, v8, v7, 1
	v_lshrrev_b32_e32 v22, 1, v8
	s_mul_u64 s[4:5], s[34:35], s[10:11]
	v_add3_u32 v16, v16, v25, v24
	v_mad_co_u64_u32 v[9:10], null, s13, v9, v[10:11]
	v_mul_lo_u32 v28, v23, s21
	v_add3_u32 v18, v18, v27, v26
	v_mad_co_u64_u32 v[23:24], null, v23, s20, 0
	v_mul_lo_u32 v10, v22, s20
	v_lshlrev_b64_e32 v[15:16], 3, v[15:16]
	s_delay_alu instid0(VALU_DEP_4)
	v_lshlrev_b64_e32 v[25:26], 3, v[17:18]
	v_mov_b32_e32 v22, v9
	s_wait_alu 0xfffe
	s_lshl_b64 s[2:3], s[4:5], 3
	s_wait_alu 0xfffe
	v_add_co_u32 v17, vcc_lo, v31, s2
	v_add3_u32 v24, v24, v28, v10
	v_lshlrev_b64_e32 v[9:10], 3, v[21:22]
	s_wait_alu 0xfffd
	v_add_co_ci_u32_e64 v18, null, s3, v32, vcc_lo
	v_add_co_u32 v25, vcc_lo, v15, v25
	s_wait_alu 0xfffd
	v_add_co_ci_u32_e64 v26, null, v16, v26, vcc_lo
	v_lshlrev_b64_e32 v[21:22], 2, v[23:24]
	s_delay_alu instid0(VALU_DEP_3) | instskip(SKIP_1) | instid1(VALU_DEP_3)
	v_add_co_u32 v23, vcc_lo, v25, v9
	s_wait_alu 0xfffd
	v_add_co_ci_u32_e64 v24, null, v26, v10, vcc_lo
	s_mul_u64 s[2:3], s[16:17], s[22:23]
	v_add_co_u32 v21, vcc_lo, v39, v21
	s_wait_alu 0xfffd
	v_add_co_ci_u32_e64 v22, null, v40, v22, vcc_lo
	v_add_co_u32 v23, vcc_lo, s24, v23
	s_wait_alu 0xfffd
	v_add_co_ci_u32_e64 v24, null, s25, v24, vcc_lo
	v_sub_co_u32 v25, vcc_lo, v5, v0
	s_wait_alu 0xfffd
	v_subrev_co_ci_u32_e64 v26, null, 0, v6, vcc_lo
	s_wait_alu 0xfffe
	s_lshl_b64 s[2:3], s[2:3], 3
	v_add_co_u32 v27, vcc_lo, v25, -1
	s_wait_alu 0xfffd
	v_add_co_ci_u32_e64 v28, null, -1, v26, vcc_lo
	s_wait_alu 0xfffe
	s_sub_nc_u64 s[12:13], 0, s[2:3]
	s_mov_b64 s[2:3], s[30:31]
	s_branch .LBB8_8
.LBB8_7:                                ;   in Loop: Header=BB8_8 Depth=1
	s_wait_alu 0xfffe
	s_or_b32 exec_lo, exec_lo, s4
	s_sub_nc_u64 s[2:3], s[2:3], s[22:23]
	v_add_co_u32 v23, vcc_lo, v23, s12
	s_wait_alu 0xfffe
	v_cmp_lt_i64_e64 s4, s[2:3], 0
	s_wait_alu 0xfffd
	v_add_co_ci_u32_e64 v24, null, s13, v24, vcc_lo
	s_and_b32 vcc_lo, exec_lo, s4
	s_wait_alu 0xfffe
	s_cbranch_vccnz .LBB8_16
.LBB8_8:                                ; =>This Inner Loop Header: Depth=1
	s_mov_b32 s4, exec_lo
                                        ; implicit-def: $vgpr29_vgpr30
	s_wait_alu 0xfffe
	v_cmpx_ne_u64_e64 s[2:3], v[25:26]
	s_xor_b32 s4, exec_lo, s4
	s_cbranch_execz .LBB8_12
; %bb.9:                                ;   in Loop: Header=BB8_8 Depth=1
	s_wait_loadcnt 0x0
	v_mov_b32_e32 v29, 0
	v_mov_b32_e32 v30, 0xfff00000
	s_mov_b32 s5, exec_lo
	v_cmpx_eq_u64_e64 s[2:3], v[27:28]
	s_cbranch_execz .LBB8_11
; %bb.10:                               ;   in Loop: Header=BB8_8 Depth=1
	global_load_b32 v29, v[21:22], off
	s_wait_loadcnt 0x0
	v_ashrrev_i32_e32 v33, 31, v29
	v_mul_lo_u32 v34, s11, v29
	v_mad_co_u64_u32 v[29:30], null, s10, v29, 0
	s_delay_alu instid0(VALU_DEP_3) | instskip(NEXT) | instid1(VALU_DEP_1)
	v_mul_lo_u32 v33, s10, v33
	v_add3_u32 v30, v30, v33, v34
	s_delay_alu instid0(VALU_DEP_1) | instskip(NEXT) | instid1(VALU_DEP_1)
	v_lshlrev_b64_e32 v[29:30], 3, v[29:30]
	v_add_co_u32 v29, vcc_lo, v31, v29
	s_wait_alu 0xfffd
	s_delay_alu instid0(VALU_DEP_2)
	v_add_co_ci_u32_e64 v30, null, v32, v30, vcc_lo
	global_load_b64 v[29:30], v[29:30], off
.LBB8_11:                               ;   in Loop: Header=BB8_8 Depth=1
	s_wait_alu 0xfffe
	s_or_b32 exec_lo, exec_lo, s5
.LBB8_12:                               ;   in Loop: Header=BB8_8 Depth=1
	s_wait_alu 0xfffe
	s_and_not1_saveexec_b32 s4, s4
	s_cbranch_execz .LBB8_14
; %bb.13:                               ;   in Loop: Header=BB8_8 Depth=1
	s_wait_loadcnt 0x0
	global_load_b64 v[29:30], v[17:18], off
.LBB8_14:                               ;   in Loop: Header=BB8_8 Depth=1
	s_wait_alu 0xfffe
	s_or_b32 exec_lo, exec_lo, s4
	v_add_co_u32 v33, s4, v0, s2
	s_wait_alu 0xf1ff
	v_add_co_ci_u32_e64 v34, null, 0, s3, s4
	s_mov_b32 s4, exec_lo
	v_cmpx_ge_i64_e64 s[28:29], v[33:34]
	s_cbranch_execz .LBB8_7
; %bb.15:                               ;   in Loop: Header=BB8_8 Depth=1
	s_wait_loadcnt 0x0
	global_store_b64 v[23:24], v[29:30], off
	s_branch .LBB8_7
.LBB8_16:
	s_load_b64 s[2:3], s[0:1], 0x18
	v_add_co_u32 v17, vcc_lo, v13, 2
	s_wait_alu 0xfffd
	v_add_co_ci_u32_e64 v18, null, 0, v14, vcc_lo
	v_lshlrev_b64_e32 v[13:14], 3, v[13:14]
	s_delay_alu instid0(VALU_DEP_3) | instskip(SKIP_1) | instid1(VALU_DEP_3)
	v_mul_lo_u32 v21, s17, v17
	s_lshl_b64 s[4:5], s[14:15], 3
	v_mul_lo_u32 v22, s16, v18
	v_mad_co_u64_u32 v[17:18], null, s16, v17, 0
	s_wait_alu 0xfffe
	s_sub_nc_u64 s[18:19], 0, s[4:5]
	v_add_co_u32 v13, vcc_lo, v13, 8
	s_wait_alu 0xfffd
	v_add_co_ci_u32_e64 v14, null, 0, v14, vcc_lo
	v_cmp_lt_i64_e64 s0, 0, v[11:12]
	s_delay_alu instid0(VALU_DEP_4)
	v_add3_u32 v18, v18, v22, v21
	v_cmp_ne_u64_e64 s1, 0, v[11:12]
	v_mul_lo_u32 v24, s17, v13
	s_wait_kmcnt 0x0
	s_add_nc_u64 s[4:5], s[2:3], -1
	s_add_nc_u64 s[36:37], s[2:3], -2
	s_wait_alu 0xfffe
	s_mul_u64 s[4:5], s[14:15], s[4:5]
	s_mul_u64 s[8:9], s[14:15], s[36:37]
	s_wait_alu 0xfffe
	s_lshl_b64 s[4:5], s[4:5], 3
	s_lshl_b64 s[8:9], s[8:9], 3
	s_wait_alu 0xfffe
	s_add_nc_u64 s[4:5], s[24:25], s[4:5]
	v_lshlrev_b64_e32 v[17:18], 3, v[17:18]
	s_add_nc_u64 s[8:9], s[24:25], s[8:9]
	s_wait_alu 0xfffe
	v_mad_co_u64_u32 v[11:12], null, s16, v13, s[4:5]
	v_add_co_u32 v13, vcc_lo, s8, v15
	v_mul_lo_u32 v23, s16, v14
	s_wait_alu 0xfffd
	v_add_co_ci_u32_e64 v14, null, s9, v16, vcc_lo
	s_mul_u64 s[8:9], s[6:7], s[36:37]
	v_add_co_u32 v15, vcc_lo, s4, v15
	s_wait_alu 0xfffd
	v_add_co_ci_u32_e64 v16, null, s5, v16, vcc_lo
	s_wait_alu 0xfffe
	s_lshl_b64 s[8:9], s[8:9], 3
	v_add_co_u32 v17, vcc_lo, s4, v17
	s_wait_alu 0xfffd
	v_add_co_ci_u32_e64 v18, null, s5, v18, vcc_lo
	s_wait_alu 0xfffe
	s_add_nc_u64 s[4:5], s[26:27], s[8:9]
	v_cmp_gt_i64_e64 s33, s[2:3], 1
	s_wait_alu 0xfffe
	v_add_co_u32 v19, vcc_lo, s4, v19
	v_add3_u32 v12, v24, v12, v23
	s_wait_alu 0xfffd
	v_add_co_ci_u32_e64 v20, null, s5, v20, vcc_lo
	s_lshl_b64 s[4:5], s[6:7], 3
	s_mov_b32 s16, 0x652b82fe
	s_mov_b32 s24, 0xfefa39ef
	;; [unrolled: 1-line block ×20, first 2 shown]
	s_lshl_b64 s[10:11], s[10:11], 3
	s_wait_alu 0xfffe
	s_sub_nc_u64 s[14:15], 0, s[4:5]
	s_mov_b32 s17, 0x3ff71547
	s_mov_b32 s25, 0xbfe62e42
	;; [unrolled: 1-line block ×23, first 2 shown]
	s_branch .LBB8_18
.LBB8_17:                               ;   in Loop: Header=BB8_18 Depth=1
	v_add_co_u32 v13, vcc_lo, v13, s12
	s_wait_alu 0xfffd
	v_add_co_ci_u32_e64 v14, null, s13, v14, vcc_lo
	v_add_co_u32 v11, vcc_lo, v11, s12
	s_sub_nc_u64 s[30:31], s[30:31], s[22:23]
	s_wait_alu 0xfffd
	v_add_co_ci_u32_e64 v12, null, s13, v12, vcc_lo
	v_add_co_u32 v15, vcc_lo, v15, s12
	s_wait_alu 0xfffe
	v_cmp_lt_i64_e64 s2, s[30:31], 0
	s_wait_alu 0xfffd
	v_add_co_ci_u32_e64 v16, null, s13, v16, vcc_lo
	v_add_co_u32 v17, vcc_lo, v17, s12
	s_wait_alu 0xfffd
	v_add_co_ci_u32_e64 v18, null, s13, v18, vcc_lo
	s_and_b32 vcc_lo, exec_lo, s2
	s_wait_alu 0xfffe
	s_cbranch_vccnz .LBB8_43
.LBB8_18:                               ; =>This Loop Header: Depth=1
                                        ;     Child Loop BB8_29 Depth 2
	v_add_co_u32 v23, s2, s30, v0
	s_wait_alu 0xf1ff
	v_add_co_ci_u32_e64 v24, null, s31, 0, s2
	v_dual_mov_b32 v25, s34 :: v_dual_mov_b32 v26, s35
	s_mov_b32 s78, 0
	s_delay_alu instid0(VALU_DEP_2)
	v_cmp_le_i64_e64 s3, v[23:24], v[5:6]
	s_and_b32 s2, s0, s3
	s_wait_alu 0xfffe
	s_and_saveexec_b32 s4, s2
	s_cbranch_execz .LBB8_26
; %bb.19:                               ;   in Loop: Header=BB8_18 Depth=1
	v_and_b32_e32 v21, 1, v23
	v_dual_mov_b32 v25, s34 :: v_dual_mov_b32 v26, s35
	s_delay_alu instid0(VALU_DEP_2)
	v_cmp_eq_u32_e32 vcc_lo, 1, v21
	s_and_saveexec_b32 s5, vcc_lo
	s_cbranch_execz .LBB8_21
; %bb.20:                               ;   in Loop: Header=BB8_18 Depth=1
	v_alignbit_b32 v21, v24, v23, 1
	v_lshrrev_b32_e32 v25, 1, v24
	s_delay_alu instid0(VALU_DEP_2) | instskip(SKIP_1) | instid1(VALU_DEP_3)
	v_mul_lo_u32 v26, v21, s21
	v_mad_co_u64_u32 v[21:22], null, v21, s20, 0
	v_mul_lo_u32 v25, v25, s20
	s_delay_alu instid0(VALU_DEP_1) | instskip(NEXT) | instid1(VALU_DEP_1)
	v_add3_u32 v22, v22, v26, v25
	v_lshlrev_b64_e32 v[21:22], 2, v[21:22]
	s_delay_alu instid0(VALU_DEP_1) | instskip(SKIP_1) | instid1(VALU_DEP_2)
	v_add_co_u32 v21, s2, v39, v21
	s_wait_alu 0xf1ff
	v_add_co_ci_u32_e64 v22, null, v40, v22, s2
	global_load_b32 v25, v[21:22], off
	s_wait_loadcnt 0x0
	v_ashrrev_i32_e32 v26, 31, v25
.LBB8_21:                               ;   in Loop: Header=BB8_18 Depth=1
	s_wait_alu 0xfffe
	s_or_b32 exec_lo, exec_lo, s5
	s_mov_b32 s6, 0
	s_mov_b32 s5, exec_lo
	v_cmpx_lt_i64_e64 v[23:24], v[7:8]
	s_cbranch_execz .LBB8_25
; %bb.22:                               ;   in Loop: Header=BB8_18 Depth=1
	v_dual_mov_b32 v21, s34 :: v_dual_mov_b32 v22, s35
	s_and_saveexec_b32 s2, vcc_lo
	s_cbranch_execz .LBB8_24
; %bb.23:                               ;   in Loop: Header=BB8_18 Depth=1
	v_add_co_u32 v21, vcc_lo, v23, 2
	s_wait_alu 0xfffd
	v_add_co_ci_u32_e64 v22, null, 0, v24, vcc_lo
	s_delay_alu instid0(VALU_DEP_1) | instskip(SKIP_1) | instid1(VALU_DEP_2)
	v_alignbit_b32 v21, v22, v21, 1
	v_lshrrev_b32_e32 v27, 1, v22
	v_mul_lo_u32 v28, v21, s21
	v_mad_co_u64_u32 v[21:22], null, v21, s20, 0
	s_delay_alu instid0(VALU_DEP_3) | instskip(NEXT) | instid1(VALU_DEP_1)
	v_mul_lo_u32 v27, v27, s20
	v_add3_u32 v22, v22, v28, v27
	s_delay_alu instid0(VALU_DEP_1) | instskip(NEXT) | instid1(VALU_DEP_1)
	v_lshlrev_b64_e32 v[21:22], 2, v[21:22]
	v_add_co_u32 v21, vcc_lo, v39, v21
	s_wait_alu 0xfffd
	s_delay_alu instid0(VALU_DEP_2)
	v_add_co_ci_u32_e64 v22, null, v40, v22, vcc_lo
	global_load_b32 v21, v[21:22], off
	s_wait_loadcnt 0x0
	v_ashrrev_i32_e32 v22, 31, v21
.LBB8_24:                               ;   in Loop: Header=BB8_18 Depth=1
	s_wait_alu 0xfffe
	s_or_b32 exec_lo, exec_lo, s2
	s_delay_alu instid0(VALU_DEP_1)
	v_cmp_ne_u64_e32 vcc_lo, v[21:22], v[25:26]
	s_and_b32 s6, vcc_lo, exec_lo
.LBB8_25:                               ;   in Loop: Header=BB8_18 Depth=1
	s_wait_alu 0xfffe
	s_or_b32 exec_lo, exec_lo, s5
	s_delay_alu instid0(SALU_CYCLE_1)
	s_and_b32 s78, s6, exec_lo
.LBB8_26:                               ;   in Loop: Header=BB8_18 Depth=1
	s_wait_alu 0xfffe
	s_or_b32 exec_lo, exec_lo, s4
	s_delay_alu instid0(SALU_CYCLE_1)
	s_and_not1_b32 vcc_lo, exec_lo, s33
	s_wait_alu 0xfffe
	s_cbranch_vccnz .LBB8_17
; %bb.27:                               ;   in Loop: Header=BB8_18 Depth=1
	v_mad_co_u64_u32 v[21:22], null, s10, v25, v[19:20]
	v_mul_lo_u32 v26, s10, v26
	v_mul_lo_u32 v25, s11, v25
	v_cmp_gt_i64_e64 s4, 1, v[23:24]
	v_cmp_lt_i64_e64 s2, v[23:24], v[5:6]
	v_cmp_lt_i64_e32 vcc_lo, s[28:29], v[23:24]
	v_dual_mov_b32 v24, v18 :: v_dual_mov_b32 v23, v17
	v_dual_mov_b32 v28, v12 :: v_dual_mov_b32 v27, v11
	v_add3_u32 v22, v25, v22, v26
	v_dual_mov_b32 v26, v16 :: v_dual_mov_b32 v25, v15
	s_wait_loadcnt 0x0
	v_dual_mov_b32 v30, v14 :: v_dual_mov_b32 v29, v13
	s_or_b32 s4, s1, s4
	s_xor_b32 s80, s3, -1
	s_wait_alu 0xfffe
	s_and_b32 s79, s4, s3
	s_mov_b64 s[76:77], s[36:37]
	s_branch .LBB8_29
.LBB8_28:                               ;   in Loop: Header=BB8_29 Depth=2
	s_wait_alu 0xfffe
	s_or_b32 exec_lo, exec_lo, s4
	v_add_co_u32 v29, s3, v29, s18
	s_wait_alu 0xf1ff
	v_add_co_ci_u32_e64 v30, null, s19, v30, s3
	v_add_co_u32 v27, s3, v27, s18
	s_wait_alu 0xf1ff
	v_add_co_ci_u32_e64 v28, null, s19, v28, s3
	;; [unrolled: 3-line block ×5, first 2 shown]
	s_add_nc_u64 s[76:77], s[76:77], -1
	s_wait_alu 0xfffe
	s_cmp_eq_u64 s[76:77], -1
	s_cbranch_scc1 .LBB8_17
.LBB8_29:                               ;   Parent Loop BB8_18 Depth=1
                                        ; =>  This Inner Loop Header: Depth=2
	s_wait_alu 0xfffe
	v_cmp_ge_i64_e64 s3, s[76:77], v[3:4]
	s_mov_b32 s81, 0
	s_wait_storecnt 0x0
	s_barrier_signal -1
	s_barrier_wait -1
	global_inv scope:SCOPE_SE
	s_or_b32 s3, s80, s3
	s_wait_alu 0xfffe
	s_and_saveexec_b32 s4, s3
	s_wait_alu 0xfffe
	s_xor_b32 s4, exec_lo, s4
; %bb.30:                               ;   in Loop: Header=BB8_29 Depth=2
	v_cmp_lt_i64_e64 s3, s[76:77], v[1:2]
	s_and_b32 s3, s3, s79
	s_wait_alu 0xfffe
	s_nor_b32 s3, vcc_lo, s3
	s_wait_alu 0xfffe
	s_and_b32 s81, s3, exec_lo
; %bb.31:                               ;   in Loop: Header=BB8_29 Depth=2
	s_or_saveexec_b32 s82, s4
	v_mov_b32_e32 v31, 0
	v_mov_b32_e32 v32, 0xfff00000
	s_xor_b32 exec_lo, exec_lo, s82
	s_cbranch_execz .LBB8_41
; %bb.32:                               ;   in Loop: Header=BB8_29 Depth=2
	v_add_co_u32 v31, s3, v25, v9
	s_wait_alu 0xf1ff
	v_add_co_ci_u32_e64 v32, null, v26, v10, s3
	v_mov_b32_e32 v33, 0
	v_mov_b32_e32 v34, 0xfff00000
	global_load_b64 v[35:36], v[31:32], off
	v_mov_b32_e32 v31, 0
	v_mov_b32_e32 v32, 0xfff00000
	s_wait_loadcnt 0x0
	v_dual_mov_b32 v38, v36 :: v_dual_mov_b32 v37, v35
	s_and_saveexec_b32 s4, s2
	s_cbranch_execz .LBB8_36
; %bb.33:                               ;   in Loop: Header=BB8_29 Depth=2
	v_add_co_u32 v33, s3, v27, v9
	s_wait_alu 0xf1ff
	v_add_co_ci_u32_e64 v34, null, v28, v10, s3
	v_dual_mov_b32 v38, v36 :: v_dual_mov_b32 v37, v35
	s_mov_b32 s5, exec_lo
	global_load_b64 v[33:34], v[33:34], off
	s_wait_loadcnt 0x0
	v_cmpx_gt_f64_e32 v[33:34], v[35:36]
; %bb.34:                               ;   in Loop: Header=BB8_29 Depth=2
	v_dual_mov_b32 v38, v34 :: v_dual_mov_b32 v37, v33
; %bb.35:                               ;   in Loop: Header=BB8_29 Depth=2
	s_wait_alu 0xfffe
	s_or_b32 exec_lo, exec_lo, s5
.LBB8_36:                               ;   in Loop: Header=BB8_29 Depth=2
	s_wait_alu 0xfffe
	s_or_b32 exec_lo, exec_lo, s4
	s_and_saveexec_b32 s4, s78
	s_cbranch_execz .LBB8_40
; %bb.37:                               ;   in Loop: Header=BB8_29 Depth=2
	v_add_co_u32 v31, s3, v23, v9
	s_wait_alu 0xf1ff
	v_add_co_ci_u32_e64 v32, null, v24, v10, s3
	s_mov_b32 s5, exec_lo
	global_load_b64 v[31:32], v[31:32], off
	s_wait_loadcnt 0x0
	v_cmpx_gt_f64_e32 v[31:32], v[37:38]
; %bb.38:                               ;   in Loop: Header=BB8_29 Depth=2
	v_dual_mov_b32 v38, v32 :: v_dual_mov_b32 v37, v31
; %bb.39:                               ;   in Loop: Header=BB8_29 Depth=2
	s_wait_alu 0xfffe
	s_or_b32 exec_lo, exec_lo, s5
.LBB8_40:                               ;   in Loop: Header=BB8_29 Depth=2
	s_wait_alu 0xfffe
	s_or_b32 exec_lo, exec_lo, s4
	v_cmp_neq_f64_e64 s3, 0xfff00000, v[37:38]
	s_mov_b32 s73, s59
	s_mov_b32 s74, s26
	s_or_b32 s81, s81, exec_lo
	v_cndmask_b32_e64 v38, 0, v38, s3
	v_cndmask_b32_e64 v37, 0, v37, s3
	s_delay_alu instid0(VALU_DEP_1) | instskip(SKIP_2) | instid1(VALU_DEP_3)
	v_add_f64_e64 v[35:36], v[35:36], -v[37:38]
	v_add_f64_e64 v[33:34], v[33:34], -v[37:38]
	;; [unrolled: 1-line block ×3, first 2 shown]
	v_mul_f64_e32 v[41:42], s[16:17], v[35:36]
	s_delay_alu instid0(VALU_DEP_3) | instskip(NEXT) | instid1(VALU_DEP_3)
	v_mul_f64_e32 v[43:44], s[16:17], v[33:34]
	v_mul_f64_e32 v[45:46], s[16:17], v[31:32]
	v_cmp_nlt_f64_e64 s3, 0x40900000, v[35:36]
	v_cmp_nlt_f64_e64 s5, 0x40900000, v[33:34]
	v_cmp_ngt_f64_e64 s4, 0xc090cc00, v[35:36]
	v_cmp_ngt_f64_e64 s6, 0xc090cc00, v[33:34]
	v_cmp_nlt_f64_e64 s7, 0x40900000, v[31:32]
	v_cmp_ngt_f64_e64 s8, 0xc090cc00, v[31:32]
	v_rndne_f64_e32 v[41:42], v[41:42]
	v_rndne_f64_e32 v[43:44], v[43:44]
	;; [unrolled: 1-line block ×3, first 2 shown]
	s_delay_alu instid0(VALU_DEP_3) | instskip(NEXT) | instid1(VALU_DEP_3)
	v_fma_f64 v[47:48], v[41:42], s[24:25], v[35:36]
	v_fma_f64 v[49:50], v[43:44], s[24:25], v[33:34]
	s_delay_alu instid0(VALU_DEP_3) | instskip(SKIP_1) | instid1(VALU_DEP_4)
	v_fma_f64 v[51:52], v[45:46], s[24:25], v[31:32]
	v_cvt_i32_f64_e32 v59, v[41:42]
	v_fma_f64 v[47:48], v[41:42], s[26:27], v[47:48]
	s_delay_alu instid0(VALU_DEP_4) | instskip(NEXT) | instid1(VALU_DEP_4)
	v_fma_f64 v[49:50], v[43:44], s[26:27], v[49:50]
	v_fma_f64 v[51:52], v[45:46], s[26:27], v[51:52]
	s_delay_alu instid0(VALU_DEP_3) | instskip(NEXT) | instid1(VALU_DEP_3)
	v_fma_f64 v[53:54], v[47:48], s[40:41], s[38:39]
	v_fma_f64 v[55:56], v[49:50], s[40:41], s[38:39]
	s_delay_alu instid0(VALU_DEP_3) | instskip(NEXT) | instid1(VALU_DEP_3)
	;; [unrolled: 3-line block ×14, first 2 shown]
	v_fma_f64 v[57:58], v[51:52], v[57:58], s[56:57]
	v_fma_f64 v[53:54], v[47:48], v[53:54], 1.0
	s_delay_alu instid0(VALU_DEP_3) | instskip(NEXT) | instid1(VALU_DEP_3)
	v_fma_f64 v[55:56], v[49:50], v[55:56], 1.0
	v_fma_f64 v[57:58], v[51:52], v[57:58], 1.0
	s_delay_alu instid0(VALU_DEP_3) | instskip(SKIP_1) | instid1(VALU_DEP_4)
	v_fma_f64 v[41:42], v[47:48], v[53:54], 1.0
	v_cvt_i32_f64_e32 v47, v[43:44]
	v_fma_f64 v[43:44], v[49:50], v[55:56], 1.0
	v_cvt_i32_f64_e32 v48, v[45:46]
	v_fma_f64 v[45:46], v[51:52], v[57:58], 1.0
	v_ldexp_f64 v[41:42], v[41:42], v59
	s_delay_alu instid0(VALU_DEP_4) | instskip(NEXT) | instid1(VALU_DEP_3)
	v_ldexp_f64 v[43:44], v[43:44], v47
	v_ldexp_f64 v[45:46], v[45:46], v48
	s_wait_alu 0xf1ff
	s_delay_alu instid0(VALU_DEP_3) | instskip(SKIP_1) | instid1(VALU_DEP_3)
	v_cndmask_b32_e64 v42, 0x7ff00000, v42, s3
	s_and_b32 s3, s4, s3
	v_cndmask_b32_e64 v35, 0x7ff00000, v44, s5
	s_wait_alu 0xfffe
	v_cndmask_b32_e64 v31, 0, v41, s3
	s_and_b32 s3, s6, s5
	v_cndmask_b32_e64 v32, 0, v42, s4
	s_wait_alu 0xfffe
	v_cndmask_b32_e64 v33, 0, v43, s3
	v_cndmask_b32_e64 v34, 0, v35, s6
	;; [unrolled: 1-line block ×3, first 2 shown]
	s_and_b32 s3, s8, s7
	s_delay_alu instid0(VALU_DEP_2) | instskip(NEXT) | instid1(VALU_DEP_2)
	v_add_f64_e32 v[31:32], v[31:32], v[33:34]
	v_cndmask_b32_e64 v34, 0, v36, s8
	s_wait_alu 0xfffe
	v_cndmask_b32_e64 v33, 0, v45, s3
	s_mov_b32 s8, s24
	s_delay_alu instid0(VALU_DEP_1) | instskip(NEXT) | instid1(VALU_DEP_1)
	v_add_f64_e32 v[31:32], v[33:34], v[31:32]
	v_frexp_mant_f64_e32 v[33:34], v[31:32]
	s_delay_alu instid0(VALU_DEP_1) | instskip(SKIP_1) | instid1(VALU_DEP_1)
	v_cmp_gt_f64_e64 s3, s[58:59], v[33:34]
	s_wait_alu 0xf1ff
	v_cndmask_b32_e64 v35, 0, 1, s3
	s_delay_alu instid0(VALU_DEP_1) | instskip(NEXT) | instid1(VALU_DEP_1)
	v_ldexp_f64 v[33:34], v[33:34], v35
	v_add_f64_e32 v[35:36], 1.0, v[33:34]
	v_add_f64_e32 v[45:46], -1.0, v[33:34]
	s_delay_alu instid0(VALU_DEP_2) | instskip(SKIP_1) | instid1(VALU_DEP_1)
	v_rcp_f64_e32 v[41:42], v[35:36]
	v_add_f64_e32 v[47:48], -1.0, v[35:36]
	v_add_f64_e64 v[33:34], v[33:34], -v[47:48]
	s_delay_alu instid0(TRANS32_DEP_1) | instskip(NEXT) | instid1(VALU_DEP_1)
	v_fma_f64 v[43:44], -v[35:36], v[41:42], 1.0
	v_fma_f64 v[41:42], v[43:44], v[41:42], v[41:42]
	s_delay_alu instid0(VALU_DEP_1) | instskip(NEXT) | instid1(VALU_DEP_1)
	v_fma_f64 v[43:44], -v[35:36], v[41:42], 1.0
	v_fma_f64 v[41:42], v[43:44], v[41:42], v[41:42]
	s_delay_alu instid0(VALU_DEP_1) | instskip(NEXT) | instid1(VALU_DEP_1)
	v_mul_f64_e32 v[43:44], v[45:46], v[41:42]
	v_mul_f64_e32 v[49:50], v[35:36], v[43:44]
	s_delay_alu instid0(VALU_DEP_1) | instskip(NEXT) | instid1(VALU_DEP_1)
	v_fma_f64 v[35:36], v[43:44], v[35:36], -v[49:50]
	v_fma_f64 v[33:34], v[43:44], v[33:34], v[35:36]
	s_delay_alu instid0(VALU_DEP_1) | instskip(NEXT) | instid1(VALU_DEP_1)
	v_add_f64_e32 v[35:36], v[49:50], v[33:34]
	v_add_f64_e64 v[47:48], v[45:46], -v[35:36]
	v_add_f64_e64 v[49:50], v[35:36], -v[49:50]
	s_delay_alu instid0(VALU_DEP_2) | instskip(NEXT) | instid1(VALU_DEP_2)
	v_add_f64_e64 v[45:46], v[45:46], -v[47:48]
	v_add_f64_e64 v[33:34], v[49:50], -v[33:34]
	v_frexp_exp_i32_f64_e32 v49, v[31:32]
	s_delay_alu instid0(VALU_DEP_3) | instskip(NEXT) | instid1(VALU_DEP_1)
	v_add_f64_e64 v[35:36], v[45:46], -v[35:36]
	v_add_f64_e32 v[33:34], v[33:34], v[35:36]
	s_delay_alu instid0(VALU_DEP_1) | instskip(NEXT) | instid1(VALU_DEP_1)
	v_add_f64_e32 v[33:34], v[47:48], v[33:34]
	v_mul_f64_e32 v[33:34], v[41:42], v[33:34]
	s_delay_alu instid0(VALU_DEP_1) | instskip(NEXT) | instid1(VALU_DEP_1)
	v_add_f64_e32 v[35:36], v[43:44], v[33:34]
	v_mul_f64_e32 v[41:42], v[35:36], v[35:36]
	s_delay_alu instid0(VALU_DEP_1) | instskip(SKIP_1) | instid1(VALU_DEP_2)
	v_fma_f64 v[45:46], v[41:42], s[62:63], s[60:61]
	v_mul_f64_e32 v[47:48], v[35:36], v[41:42]
	v_fma_f64 v[45:46], v[41:42], v[45:46], s[64:65]
	s_delay_alu instid0(VALU_DEP_1) | instskip(NEXT) | instid1(VALU_DEP_1)
	v_fma_f64 v[45:46], v[41:42], v[45:46], s[66:67]
	v_fma_f64 v[45:46], v[41:42], v[45:46], s[68:69]
	s_delay_alu instid0(VALU_DEP_1) | instskip(NEXT) | instid1(VALU_DEP_1)
	v_fma_f64 v[45:46], v[41:42], v[45:46], s[70:71]
	v_fma_f64 v[41:42], v[41:42], v[45:46], s[72:73]
	v_ldexp_f64 v[45:46], v[35:36], 1
	v_add_f64_e64 v[35:36], v[35:36], -v[43:44]
	s_delay_alu instid0(VALU_DEP_3) | instskip(SKIP_1) | instid1(VALU_DEP_3)
	v_mul_f64_e32 v[41:42], v[47:48], v[41:42]
	v_subrev_co_ci_u32_e64 v47, null, 0, v49, s3
	v_add_f64_e64 v[33:34], v[33:34], -v[35:36]
	v_cmp_class_f64_e64 s3, v[31:32], 0x204
	s_delay_alu instid0(VALU_DEP_3) | instskip(SKIP_1) | instid1(VALU_DEP_4)
	v_cvt_f64_i32_e32 v[47:48], v47
	v_add_f64_e32 v[43:44], v[45:46], v[41:42]
	v_ldexp_f64 v[33:34], v[33:34], 1
	s_wait_alu 0xfffe
	s_delay_alu instid0(VALU_DEP_3) | instskip(NEXT) | instid1(VALU_DEP_3)
	v_mul_f64_e32 v[49:50], s[8:9], v[47:48]
	v_add_f64_e64 v[35:36], v[43:44], -v[45:46]
	s_delay_alu instid0(VALU_DEP_2) | instskip(NEXT) | instid1(VALU_DEP_2)
	v_fma_f64 v[45:46], v[47:48], s[8:9], -v[49:50]
	v_add_f64_e64 v[35:36], v[41:42], -v[35:36]
	s_delay_alu instid0(VALU_DEP_2) | instskip(NEXT) | instid1(VALU_DEP_2)
	v_fma_f64 v[41:42], v[47:48], s[74:75], v[45:46]
	v_add_f64_e32 v[33:34], v[33:34], v[35:36]
	s_delay_alu instid0(VALU_DEP_2) | instskip(NEXT) | instid1(VALU_DEP_2)
	v_add_f64_e32 v[35:36], v[49:50], v[41:42]
	v_add_f64_e32 v[45:46], v[43:44], v[33:34]
	s_delay_alu instid0(VALU_DEP_2) | instskip(NEXT) | instid1(VALU_DEP_2)
	v_add_f64_e64 v[49:50], v[35:36], -v[49:50]
	v_add_f64_e32 v[47:48], v[35:36], v[45:46]
	v_add_f64_e64 v[43:44], v[45:46], -v[43:44]
	s_delay_alu instid0(VALU_DEP_3) | instskip(NEXT) | instid1(VALU_DEP_3)
	v_add_f64_e64 v[41:42], v[41:42], -v[49:50]
	v_add_f64_e64 v[51:52], v[47:48], -v[35:36]
	s_delay_alu instid0(VALU_DEP_3) | instskip(NEXT) | instid1(VALU_DEP_2)
	v_add_f64_e64 v[33:34], v[33:34], -v[43:44]
	v_add_f64_e64 v[53:54], v[47:48], -v[51:52]
	;; [unrolled: 1-line block ×3, first 2 shown]
	s_delay_alu instid0(VALU_DEP_3) | instskip(SKIP_2) | instid1(VALU_DEP_1)
	v_add_f64_e32 v[49:50], v[41:42], v[33:34]
	global_load_b64 v[45:46], v[21:22], off
	v_add_f64_e64 v[35:36], v[35:36], -v[53:54]
	v_add_f64_e32 v[35:36], v[43:44], v[35:36]
	v_add_f64_e64 v[43:44], v[49:50], -v[41:42]
	s_delay_alu instid0(VALU_DEP_2) | instskip(NEXT) | instid1(VALU_DEP_2)
	v_add_f64_e32 v[35:36], v[49:50], v[35:36]
	v_add_f64_e64 v[49:50], v[49:50], -v[43:44]
	v_add_f64_e64 v[33:34], v[33:34], -v[43:44]
	s_delay_alu instid0(VALU_DEP_3) | instskip(NEXT) | instid1(VALU_DEP_3)
	v_add_f64_e32 v[51:52], v[47:48], v[35:36]
	v_add_f64_e64 v[41:42], v[41:42], -v[49:50]
	s_delay_alu instid0(VALU_DEP_2) | instskip(NEXT) | instid1(VALU_DEP_2)
	v_add_f64_e64 v[43:44], v[51:52], -v[47:48]
	v_add_f64_e32 v[33:34], v[33:34], v[41:42]
	s_delay_alu instid0(VALU_DEP_2) | instskip(NEXT) | instid1(VALU_DEP_1)
	v_add_f64_e64 v[35:36], v[35:36], -v[43:44]
	v_add_f64_e32 v[33:34], v[33:34], v[35:36]
	s_delay_alu instid0(VALU_DEP_1) | instskip(SKIP_1) | instid1(VALU_DEP_1)
	v_add_f64_e32 v[33:34], v[51:52], v[33:34]
	s_wait_alu 0xf1ff
	v_cndmask_b32_e64 v33, v33, v31, s3
	s_delay_alu instid0(VALU_DEP_2) | instskip(SKIP_2) | instid1(VALU_DEP_1)
	v_cndmask_b32_e64 v34, v34, v32, s3
	v_cmp_ngt_f64_e64 s3, 0, v[31:32]
	s_wait_alu 0xf1ff
	v_cndmask_b32_e64 v34, 0x7ff80000, v34, s3
	v_cmp_nge_f64_e64 s3, 0, v[31:32]
	s_wait_alu 0xf1ff
	s_delay_alu instid0(VALU_DEP_1) | instskip(SKIP_2) | instid1(VALU_DEP_1)
	v_cndmask_b32_e64 v33, 0, v33, s3
	v_cmp_neq_f64_e64 s3, 0, v[31:32]
	s_wait_alu 0xf1ff
	v_cndmask_b32_e64 v34, 0xfff00000, v34, s3
	s_delay_alu instid0(VALU_DEP_1) | instskip(SKIP_1) | instid1(VALU_DEP_1)
	v_add_f64_e32 v[31:32], v[37:38], v[33:34]
	s_wait_loadcnt 0x0
	v_add_f64_e32 v[31:32], v[45:46], v[31:32]
.LBB8_41:                               ;   in Loop: Header=BB8_29 Depth=2
	s_or_b32 exec_lo, exec_lo, s82
	s_and_saveexec_b32 s4, s81
	s_cbranch_execz .LBB8_28
; %bb.42:                               ;   in Loop: Header=BB8_29 Depth=2
	v_add_co_u32 v33, s3, v29, v9
	s_wait_alu 0xf1ff
	v_add_co_ci_u32_e64 v34, null, v30, v10, s3
	global_store_b64 v[33:34], v[31:32], off
	s_branch .LBB8_28
.LBB8_43:
	s_endpgm
.LBB8_44:
                                        ; implicit-def: $sgpr2_sgpr3
	s_branch .LBB8_4
	.section	.rodata,"a",@progbits
	.p2align	6, 0x0
	.amdhsa_kernel _ZN2at6native12_GLOBAL__N_137ctc_loss_backward_log_beta_gpu_kernelIdiEEvPT_PKS3_PKllPKT0_S8_lllllllS8_lll
		.amdhsa_group_segment_fixed_size 0
		.amdhsa_private_segment_fixed_size 0
		.amdhsa_kernarg_size 392
		.amdhsa_user_sgpr_count 2
		.amdhsa_user_sgpr_dispatch_ptr 0
		.amdhsa_user_sgpr_queue_ptr 0
		.amdhsa_user_sgpr_kernarg_segment_ptr 1
		.amdhsa_user_sgpr_dispatch_id 0
		.amdhsa_user_sgpr_private_segment_size 0
		.amdhsa_wavefront_size32 1
		.amdhsa_uses_dynamic_stack 0
		.amdhsa_enable_private_segment 0
		.amdhsa_system_sgpr_workgroup_id_x 1
		.amdhsa_system_sgpr_workgroup_id_y 1
		.amdhsa_system_sgpr_workgroup_id_z 0
		.amdhsa_system_sgpr_workgroup_info 0
		.amdhsa_system_vgpr_workitem_id 1
		.amdhsa_next_free_vgpr 60
		.amdhsa_next_free_sgpr 83
		.amdhsa_reserve_vcc 1
		.amdhsa_float_round_mode_32 0
		.amdhsa_float_round_mode_16_64 0
		.amdhsa_float_denorm_mode_32 3
		.amdhsa_float_denorm_mode_16_64 3
		.amdhsa_fp16_overflow 0
		.amdhsa_workgroup_processor_mode 1
		.amdhsa_memory_ordered 1
		.amdhsa_forward_progress 1
		.amdhsa_inst_pref_size 42
		.amdhsa_round_robin_scheduling 0
		.amdhsa_exception_fp_ieee_invalid_op 0
		.amdhsa_exception_fp_denorm_src 0
		.amdhsa_exception_fp_ieee_div_zero 0
		.amdhsa_exception_fp_ieee_overflow 0
		.amdhsa_exception_fp_ieee_underflow 0
		.amdhsa_exception_fp_ieee_inexact 0
		.amdhsa_exception_int_div_zero 0
	.end_amdhsa_kernel
	.section	.text._ZN2at6native12_GLOBAL__N_137ctc_loss_backward_log_beta_gpu_kernelIdiEEvPT_PKS3_PKllPKT0_S8_lllllllS8_lll,"axG",@progbits,_ZN2at6native12_GLOBAL__N_137ctc_loss_backward_log_beta_gpu_kernelIdiEEvPT_PKS3_PKllPKT0_S8_lllllllS8_lll,comdat
.Lfunc_end8:
	.size	_ZN2at6native12_GLOBAL__N_137ctc_loss_backward_log_beta_gpu_kernelIdiEEvPT_PKS3_PKllPKT0_S8_lllllllS8_lll, .Lfunc_end8-_ZN2at6native12_GLOBAL__N_137ctc_loss_backward_log_beta_gpu_kernelIdiEEvPT_PKS3_PKllPKT0_S8_lllllllS8_lll
                                        ; -- End function
	.set _ZN2at6native12_GLOBAL__N_137ctc_loss_backward_log_beta_gpu_kernelIdiEEvPT_PKS3_PKllPKT0_S8_lllllllS8_lll.num_vgpr, 60
	.set _ZN2at6native12_GLOBAL__N_137ctc_loss_backward_log_beta_gpu_kernelIdiEEvPT_PKS3_PKllPKT0_S8_lllllllS8_lll.num_agpr, 0
	.set _ZN2at6native12_GLOBAL__N_137ctc_loss_backward_log_beta_gpu_kernelIdiEEvPT_PKS3_PKllPKT0_S8_lllllllS8_lll.numbered_sgpr, 83
	.set _ZN2at6native12_GLOBAL__N_137ctc_loss_backward_log_beta_gpu_kernelIdiEEvPT_PKS3_PKllPKT0_S8_lllllllS8_lll.num_named_barrier, 0
	.set _ZN2at6native12_GLOBAL__N_137ctc_loss_backward_log_beta_gpu_kernelIdiEEvPT_PKS3_PKllPKT0_S8_lllllllS8_lll.private_seg_size, 0
	.set _ZN2at6native12_GLOBAL__N_137ctc_loss_backward_log_beta_gpu_kernelIdiEEvPT_PKS3_PKllPKT0_S8_lllllllS8_lll.uses_vcc, 1
	.set _ZN2at6native12_GLOBAL__N_137ctc_loss_backward_log_beta_gpu_kernelIdiEEvPT_PKS3_PKllPKT0_S8_lllllllS8_lll.uses_flat_scratch, 0
	.set _ZN2at6native12_GLOBAL__N_137ctc_loss_backward_log_beta_gpu_kernelIdiEEvPT_PKS3_PKllPKT0_S8_lllllllS8_lll.has_dyn_sized_stack, 0
	.set _ZN2at6native12_GLOBAL__N_137ctc_loss_backward_log_beta_gpu_kernelIdiEEvPT_PKS3_PKllPKT0_S8_lllllllS8_lll.has_recursion, 0
	.set _ZN2at6native12_GLOBAL__N_137ctc_loss_backward_log_beta_gpu_kernelIdiEEvPT_PKS3_PKllPKT0_S8_lllllllS8_lll.has_indirect_call, 0
	.section	.AMDGPU.csdata,"",@progbits
; Kernel info:
; codeLenInByte = 5264
; TotalNumSgprs: 85
; NumVgprs: 60
; ScratchSize: 0
; MemoryBound: 0
; FloatMode: 240
; IeeeMode: 1
; LDSByteSize: 0 bytes/workgroup (compile time only)
; SGPRBlocks: 0
; VGPRBlocks: 7
; NumSGPRsForWavesPerEU: 85
; NumVGPRsForWavesPerEU: 60
; Occupancy: 16
; WaveLimiterHint : 1
; COMPUTE_PGM_RSRC2:SCRATCH_EN: 0
; COMPUTE_PGM_RSRC2:USER_SGPR: 2
; COMPUTE_PGM_RSRC2:TRAP_HANDLER: 0
; COMPUTE_PGM_RSRC2:TGID_X_EN: 1
; COMPUTE_PGM_RSRC2:TGID_Y_EN: 1
; COMPUTE_PGM_RSRC2:TGID_Z_EN: 0
; COMPUTE_PGM_RSRC2:TIDIG_COMP_CNT: 1
	.section	.text._ZN2at6native12_GLOBAL__N_145ctc_loss_backward_collect_nonblank_gpu_kernelIdiEEvPT_PKS3_lS6_S6_S6_PKlPKT0_S8_S6_llllllllllllS8_llb,"axG",@progbits,_ZN2at6native12_GLOBAL__N_145ctc_loss_backward_collect_nonblank_gpu_kernelIdiEEvPT_PKS3_lS6_S6_S6_PKlPKT0_S8_S6_llllllllllllS8_llb,comdat
	.globl	_ZN2at6native12_GLOBAL__N_145ctc_loss_backward_collect_nonblank_gpu_kernelIdiEEvPT_PKS3_lS6_S6_S6_PKlPKT0_S8_S6_llllllllllllS8_llb ; -- Begin function _ZN2at6native12_GLOBAL__N_145ctc_loss_backward_collect_nonblank_gpu_kernelIdiEEvPT_PKS3_lS6_S6_S6_PKlPKT0_S8_S6_llllllllllllS8_llb
	.p2align	8
	.type	_ZN2at6native12_GLOBAL__N_145ctc_loss_backward_collect_nonblank_gpu_kernelIdiEEvPT_PKS3_lS6_S6_S6_PKlPKT0_S8_S6_llllllllllllS8_llb,@function
_ZN2at6native12_GLOBAL__N_145ctc_loss_backward_collect_nonblank_gpu_kernelIdiEEvPT_PKS3_lS6_S6_S6_PKlPKT0_S8_S6_llllllllllllS8_llb: ; @_ZN2at6native12_GLOBAL__N_145ctc_loss_backward_collect_nonblank_gpu_kernelIdiEEvPT_PKS3_lS6_S6_S6_PKlPKT0_S8_S6_llllllllllllS8_llb
; %bb.0:
	s_clause 0x1
	s_load_b32 s2, s[0:1], 0xdc
	s_load_b128 s[4:7], s[0:1], 0xb8
	v_bfe_u32 v1, v0, 10, 10
	s_wait_kmcnt 0x0
	s_lshr_b32 s3, s2, 16
	s_delay_alu instid0(VALU_DEP_1) | instid1(SALU_CYCLE_1)
	v_mad_co_u64_u32 v[1:2], null, ttmp7, s3, v[1:2]
	v_mov_b32_e32 v2, 0
	s_mov_b32 s3, exec_lo
	s_delay_alu instid0(VALU_DEP_1)
	v_cmpx_gt_i64_e64 s[6:7], v[1:2]
	s_cbranch_execz .LBB9_7
; %bb.1:
	s_load_b64 s[6:7], s[0:1], 0x40
	v_lshlrev_b64_e32 v[8:9], 3, v[1:2]
	v_dual_mov_b32 v7, v2 :: v_dual_and_b32 v6, 0x3ff, v0
	s_and_b32 s2, s2, 0xffff
	s_wait_kmcnt 0x0
	s_delay_alu instid0(VALU_DEP_2) | instskip(NEXT) | instid1(VALU_DEP_1)
	v_add_co_u32 v3, vcc_lo, s6, v8
	v_add_co_ci_u32_e64 v4, null, s7, v9, vcc_lo
	global_load_b64 v[4:5], v[3:4], off
	s_wait_alu 0xfffe
	v_mad_co_u64_u32 v[2:3], null, s2, ttmp9, v[6:7]
	s_wait_loadcnt 0x0
	s_delay_alu instid0(VALU_DEP_1)
	v_cmp_lt_i64_e32 vcc_lo, v[2:3], v[4:5]
	s_and_b32 exec_lo, exec_lo, vcc_lo
	s_cbranch_execz .LBB9_7
; %bb.2:
	s_clause 0x2
	s_load_b64 s[2:3], s[0:1], 0x48
	s_load_b32 s8, s[0:1], 0xc8
	s_load_b64 s[6:7], s[0:1], 0x30
	s_mov_b64 s[34:35], 0
	s_wait_kmcnt 0x0
	v_add_co_u32 v4, vcc_lo, s2, v8
	s_wait_alu 0xfffd
	v_add_co_ci_u32_e64 v5, null, s3, v9, vcc_lo
	v_add_co_u32 v6, vcc_lo, s6, v8
	s_wait_alu 0xfffd
	v_add_co_ci_u32_e64 v7, null, s7, v9, vcc_lo
	global_load_b64 v[4:5], v[4:5], off
	s_bitcmp1_b32 s8, 0
	global_load_b64 v[6:7], v[6:7], off
	s_cselect_b32 s3, -1, 0
	s_wait_alu 0xfffe
	s_xor_b32 s3, s3, -1
	s_wait_loadcnt 0x1
	v_cmp_neq_f64_e32 vcc_lo, 0x7ff00000, v[4:5]
	s_wait_loadcnt 0x0
	v_cmp_lt_i64_e64 s2, 0, v[6:7]
	s_wait_alu 0xfffe
	s_or_b32 s3, s3, vcc_lo
	s_wait_alu 0xfffe
	s_and_b32 s2, s3, s2
	s_wait_alu 0xfffe
	s_and_b32 exec_lo, exec_lo, s2
	s_cbranch_execz .LBB9_7
; %bb.3:
	s_load_b64 s[2:3], s[0:1], 0xb0
	v_mul_lo_u32 v0, v3, s4
	v_mul_lo_u32 v12, v2, s5
	v_mad_co_u64_u32 v[10:11], null, v2, s4, 0
	s_load_b256 s[36:43], s[0:1], 0x0
	v_lshlrev_b64_e32 v[2:3], 1, v[2:3]
	s_mov_b32 s44, 0xfca7ab0c
	s_mov_b32 s46, 0x6a5dcb37
	;; [unrolled: 1-line block ×4, first 2 shown]
	v_add3_u32 v11, v11, v12, v0
	s_mov_b32 s52, 0x14761f6e
	s_mov_b32 s54, 0x1852b7b0
	;; [unrolled: 1-line block ×4, first 2 shown]
	v_lshlrev_b64_e32 v[10:11], 2, v[10:11]
	s_mov_b32 s47, 0x3e5ade15
	s_mov_b32 s49, 0x3ec71dee
	;; [unrolled: 1-line block ×3, first 2 shown]
	s_wait_kmcnt 0x0
	v_add_co_u32 v8, vcc_lo, s2, v8
	s_wait_alu 0xfffd
	v_add_co_ci_u32_e64 v9, null, s3, v9, vcc_lo
	s_load_b64 s[2:3], s[0:1], 0x38
	s_mov_b32 s53, 0x3f2a01a0
	s_mov_b32 s55, 0x3f56c16c
	global_load_b64 v[8:9], v[8:9], off
	s_mov_b32 s57, 0x3f811111
	s_wait_loadcnt 0x0
	v_lshlrev_b64_e32 v[8:9], 2, v[8:9]
	s_wait_kmcnt 0x0
	s_delay_alu instid0(VALU_DEP_1) | instskip(SKIP_1) | instid1(VALU_DEP_2)
	v_add_co_u32 v0, vcc_lo, s2, v8
	s_wait_alu 0xfffd
	v_add_co_ci_u32_e64 v9, null, s3, v9, vcc_lo
	s_mov_b32 s2, 0x652b82fe
	v_add_co_u32 v8, vcc_lo, v0, v10
	s_wait_alu 0xfffd
	v_add_co_ci_u32_e64 v9, null, v9, v11, vcc_lo
	v_mad_co_u64_u32 v[10:11], null, s40, v1, 0
	s_mov_b32 s3, 0x3ff71547
	global_load_b32 v24, v[8:9], off
	v_mov_b32_e32 v0, v11
	s_delay_alu instid0(VALU_DEP_1) | instskip(SKIP_3) | instid1(VALU_DEP_2)
	v_mad_co_u64_u32 v[8:9], null, s41, v1, v[0:1]
	v_or_b32_e32 v0, 1, v2
	s_mov_b32 s40, 0x3b39803f
	s_mov_b32 s41, 0xbc7abc9e
	v_mov_b32_e32 v11, v8
	s_delay_alu instid0(VALU_DEP_1) | instskip(NEXT) | instid1(VALU_DEP_1)
	v_lshlrev_b64_e32 v[8:9], 3, v[10:11]
	v_add_co_u32 v8, vcc_lo, s38, v8
	s_wait_alu 0xfffd
	s_delay_alu instid0(VALU_DEP_2)
	v_add_co_ci_u32_e64 v9, null, s39, v9, vcc_lo
	s_mov_b32 s38, 0xfefa39ef
	s_mov_b32 s39, 0xbfe62e42
	global_load_b64 v[8:9], v[8:9], off
	s_clause 0x2
	s_load_b128 s[28:31], s[0:1], 0x20
	s_load_b512 s[4:19], s[0:1], 0x50
	s_load_b256 s[20:27], s[0:1], 0x90
	s_mov_b32 s1, 0
	s_wait_kmcnt 0x0
	v_mad_co_u64_u32 v[10:11], null, s6, v1, 0
	v_mad_co_u64_u32 v[12:13], null, s12, v1, 0
	;; [unrolled: 1-line block ×4, first 2 shown]
	v_mul_lo_u32 v20, v3, s20
	v_mul_lo_u32 v21, v0, s21
	v_mad_co_u64_u32 v[18:19], null, v0, s20, 0
	v_mul_lo_u32 v25, v3, s26
	v_mul_lo_u32 v26, v0, s27
	v_mad_co_u64_u32 v[2:3], null, v0, s26, 0
	v_dual_mov_b32 v0, v11 :: v_dual_mov_b32 v11, v13
	v_mov_b32_e32 v13, v15
	v_mov_b32_e32 v15, v17
	v_add3_u32 v19, v19, v21, v20
	s_delay_alu instid0(VALU_DEP_4) | instskip(SKIP_3) | instid1(VALU_DEP_4)
	v_mad_co_u64_u32 v[20:21], null, s7, v1, v[0:1]
	v_mad_co_u64_u32 v[21:22], null, s13, v1, v[11:12]
	v_mad_co_u64_u32 v[22:23], null, s17, v1, v[13:14]
	v_mad_co_u64_u32 v[0:1], null, s23, v1, v[15:16]
	v_mov_b32_e32 v11, v20
	v_add3_u32 v3, v3, v26, v25
	v_mov_b32_e32 v13, v21
	v_lshlrev_b64_e32 v[18:19], 3, v[18:19]
	v_mov_b32_e32 v15, v22
	v_lshlrev_b64_e32 v[10:11], 3, v[10:11]
	;; [unrolled: 2-line block ×3, first 2 shown]
	v_lshlrev_b64_e32 v[2:3], 3, v[2:3]
	v_lshlrev_b64_e32 v[12:13], 3, v[14:15]
	s_mov_b32 s6, 0x555502a1
	v_lshlrev_b64_e32 v[14:15], 3, v[16:17]
	s_mov_b32 s12, 11
	v_add_co_u32 v20, vcc_lo, s30, v0
	s_wait_alu 0xfffd
	v_add_co_ci_u32_e64 v21, null, s31, v1, vcc_lo
	v_add_co_u32 v22, vcc_lo, s36, v10
	s_wait_alu 0xfffd
	v_add_co_ci_u32_e64 v23, null, s37, v11, vcc_lo
	;; [unrolled: 3-line block ×3, first 2 shown]
	s_mov_b32 s7, 0x3fa55555
	s_mov_b32 s13, 0x3fe00000
	s_wait_loadcnt 0x1
	v_ashrrev_i32_e32 v16, 31, v24
	v_mul_lo_u32 v17, s15, v24
	v_mad_co_u64_u32 v[0:1], null, s14, v24, 0
	v_mul_lo_u32 v25, s9, v24
	s_delay_alu instid0(VALU_DEP_4)
	v_mul_lo_u32 v26, s14, v16
	v_mad_co_u64_u32 v[10:11], null, s8, v24, 0
	v_mul_lo_u32 v16, s8, v16
	v_add_co_u32 v24, vcc_lo, s28, v14
	s_wait_alu 0xfffd
	v_add_co_ci_u32_e64 v27, null, s29, v15, vcc_lo
	v_add3_u32 v1, v1, v26, v17
	v_add_co_u32 v14, vcc_lo, v12, v18
	v_add3_u32 v11, v11, v16, v25
	s_wait_alu 0xfffd
	v_add_co_ci_u32_e64 v15, null, v13, v19, vcc_lo
	v_lshlrev_b64_e32 v[0:1], 3, v[0:1]
	v_add_co_u32 v16, vcc_lo, v24, v2
	s_wait_alu 0xfffd
	v_add_co_ci_u32_e64 v17, null, v27, v3, vcc_lo
	v_lshlrev_b64_e32 v[2:3], 3, v[10:11]
	s_delay_alu instid0(VALU_DEP_4)
	v_add_co_u32 v18, vcc_lo, v20, v0
	s_wait_alu 0xfffd
	v_add_co_ci_u32_e64 v19, null, v21, v1, vcc_lo
	s_mov_b32 s8, 0x55555511
	v_add_co_u32 v20, vcc_lo, v22, v2
	s_wait_alu 0xfffd
	v_add_co_ci_u32_e64 v21, null, v23, v3, vcc_lo
	s_mov_b32 s9, 0x3fc55555
.LBB9_4:                                ; =>This Loop Header: Depth=1
                                        ;     Child Loop BB9_5 Depth 2
	s_mul_u64 s[14:15], s[34:35], s[18:19]
	s_mul_u64 s[16:17], s[34:35], s[24:25]
	s_wait_alu 0xfffe
	s_lshl_b64 s[14:15], s[14:15], 3
	s_wait_alu 0xfffe
	v_add_co_u32 v0, vcc_lo, v14, s14
	s_wait_alu 0xfffd
	v_add_co_ci_u32_e64 v1, null, s15, v15, vcc_lo
	s_lshl_b64 s[14:15], s[16:17], 3
	s_wait_alu 0xfffe
	v_add_co_u32 v2, vcc_lo, v16, s14
	s_wait_alu 0xfffd
	v_add_co_ci_u32_e64 v3, null, s15, v17, vcc_lo
	global_load_b64 v[0:1], v[0:1], off
	global_load_b64 v[2:3], v[2:3], off
	s_mul_u64 s[14:15], s[34:35], s[10:11]
	s_wait_alu 0xfffe
	s_lshl_b64 s[14:15], s[14:15], 3
	s_wait_alu 0xfffe
	v_add_co_u32 v10, vcc_lo, v18, s14
	s_wait_alu 0xfffd
	v_add_co_ci_u32_e64 v11, null, s15, v19, vcc_lo
	s_mul_u64 s[14:15], s[34:35], s[4:5]
	s_wait_alu 0xfffe
	s_lshl_b64 s[14:15], s[14:15], 3
	global_load_b64 v[10:11], v[10:11], off
	s_wait_loadcnt 0x1
	v_add_f64_e32 v[0:1], v[0:1], v[2:3]
	s_delay_alu instid0(VALU_DEP_1) | instskip(SKIP_1) | instid1(VALU_DEP_1)
	v_add_f64_e32 v[0:1], v[4:5], v[0:1]
	s_wait_loadcnt 0x0
	v_add_f64_e64 v[0:1], v[0:1], -v[10:11]
	s_wait_alu 0xfffe
	v_add_co_u32 v10, vcc_lo, v20, s14
	s_wait_alu 0xfffd
	v_add_co_ci_u32_e64 v11, null, s15, v21, vcc_lo
	s_delay_alu instid0(VALU_DEP_3) | instskip(SKIP_2) | instid1(VALU_DEP_3)
	v_mul_f64_e32 v[2:3], s[2:3], v[0:1]
	v_cmp_nlt_f64_e32 vcc_lo, 0x40900000, v[0:1]
	v_cmp_ngt_f64_e64 s0, 0xc090cc00, v[0:1]
	v_rndne_f64_e32 v[12:13], v[2:3]
	s_delay_alu instid0(VALU_DEP_1) | instskip(SKIP_1) | instid1(VALU_DEP_2)
	v_fma_f64 v[2:3], v[12:13], s[38:39], v[0:1]
	v_cvt_i32_f64_e32 v26, v[12:13]
	v_fma_f64 v[22:23], v[12:13], s[40:41], v[2:3]
	s_delay_alu instid0(VALU_DEP_1) | instskip(NEXT) | instid1(VALU_DEP_1)
	v_fma_f64 v[2:3], v[22:23], s[46:47], s[44:45]
	v_fma_f64 v[2:3], v[22:23], v[2:3], s[48:49]
	s_delay_alu instid0(VALU_DEP_1) | instskip(NEXT) | instid1(VALU_DEP_1)
	v_fma_f64 v[2:3], v[22:23], v[2:3], s[50:51]
	;; [unrolled: 3-line block ×3, first 2 shown]
	v_fma_f64 v[24:25], v[22:23], v[2:3], s[56:57]
	global_load_b64 v[2:3], v[10:11], off
	v_fma_f64 v[24:25], v[22:23], v[24:25], s[6:7]
	s_delay_alu instid0(VALU_DEP_1) | instskip(NEXT) | instid1(VALU_DEP_1)
	v_fma_f64 v[24:25], v[22:23], v[24:25], s[8:9]
	v_fma_f64 v[24:25], v[22:23], v[24:25], s[12:13]
	s_delay_alu instid0(VALU_DEP_1) | instskip(NEXT) | instid1(VALU_DEP_1)
	v_fma_f64 v[24:25], v[22:23], v[24:25], 1.0
	v_fma_f64 v[12:13], v[22:23], v[24:25], 1.0
	s_delay_alu instid0(VALU_DEP_1) | instskip(SKIP_1) | instid1(VALU_DEP_1)
	v_ldexp_f64 v[12:13], -v[12:13], v26
	s_wait_alu 0xfffd
	v_cndmask_b32_e32 v13, 0xfff00000, v13, vcc_lo
	s_and_b32 vcc_lo, s0, vcc_lo
	s_wait_alu 0xfffe
	s_delay_alu instid0(VALU_DEP_2) | instskip(NEXT) | instid1(VALU_DEP_2)
	v_cndmask_b32_e32 v0, 0, v12, vcc_lo
	v_cndmask_b32_e64 v1, 0x80000000, v13, s0
	s_mov_b32 s0, 0
	s_delay_alu instid0(VALU_DEP_1)
	v_mul_f64_e32 v[12:13], v[8:9], v[0:1]
.LBB9_5:                                ;   Parent Loop BB9_4 Depth=1
                                        ; =>  This Inner Loop Header: Depth=2
	s_wait_loadcnt 0x0
	s_delay_alu instid0(VALU_DEP_1)
	v_add_f64_e32 v[0:1], v[2:3], v[12:13]
	global_atomic_cmpswap_b64 v[0:1], v[10:11], v[0:3], off th:TH_ATOMIC_RETURN scope:SCOPE_DEV
	s_wait_loadcnt 0x0
	v_cmp_eq_u64_e32 vcc_lo, v[0:1], v[2:3]
	v_dual_mov_b32 v3, v1 :: v_dual_mov_b32 v2, v0
	s_wait_alu 0xfffe
	s_or_b32 s0, vcc_lo, s0
	s_wait_alu 0xfffe
	s_and_not1_b32 exec_lo, exec_lo, s0
	s_cbranch_execnz .LBB9_5
; %bb.6:                                ;   in Loop: Header=BB9_4 Depth=1
	s_or_b32 exec_lo, exec_lo, s0
	s_add_nc_u64 s[34:35], s[34:35], 1
	s_wait_alu 0xfffe
	v_cmp_eq_u64_e32 vcc_lo, s[34:35], v[6:7]
	s_or_b32 s1, vcc_lo, s1
	s_wait_alu 0xfffe
	s_and_not1_b32 exec_lo, exec_lo, s1
	s_cbranch_execnz .LBB9_4
.LBB9_7:
	s_endpgm
	.section	.rodata,"a",@progbits
	.p2align	6, 0x0
	.amdhsa_kernel _ZN2at6native12_GLOBAL__N_145ctc_loss_backward_collect_nonblank_gpu_kernelIdiEEvPT_PKS3_lS6_S6_S6_PKlPKT0_S8_S6_llllllllllllS8_llb
		.amdhsa_group_segment_fixed_size 0
		.amdhsa_private_segment_fixed_size 0
		.amdhsa_kernarg_size 464
		.amdhsa_user_sgpr_count 2
		.amdhsa_user_sgpr_dispatch_ptr 0
		.amdhsa_user_sgpr_queue_ptr 0
		.amdhsa_user_sgpr_kernarg_segment_ptr 1
		.amdhsa_user_sgpr_dispatch_id 0
		.amdhsa_user_sgpr_private_segment_size 0
		.amdhsa_wavefront_size32 1
		.amdhsa_uses_dynamic_stack 0
		.amdhsa_enable_private_segment 0
		.amdhsa_system_sgpr_workgroup_id_x 1
		.amdhsa_system_sgpr_workgroup_id_y 1
		.amdhsa_system_sgpr_workgroup_id_z 0
		.amdhsa_system_sgpr_workgroup_info 0
		.amdhsa_system_vgpr_workitem_id 1
		.amdhsa_next_free_vgpr 28
		.amdhsa_next_free_sgpr 58
		.amdhsa_reserve_vcc 1
		.amdhsa_float_round_mode_32 0
		.amdhsa_float_round_mode_16_64 0
		.amdhsa_float_denorm_mode_32 3
		.amdhsa_float_denorm_mode_16_64 3
		.amdhsa_fp16_overflow 0
		.amdhsa_workgroup_processor_mode 1
		.amdhsa_memory_ordered 1
		.amdhsa_forward_progress 1
		.amdhsa_inst_pref_size 15
		.amdhsa_round_robin_scheduling 0
		.amdhsa_exception_fp_ieee_invalid_op 0
		.amdhsa_exception_fp_denorm_src 0
		.amdhsa_exception_fp_ieee_div_zero 0
		.amdhsa_exception_fp_ieee_overflow 0
		.amdhsa_exception_fp_ieee_underflow 0
		.amdhsa_exception_fp_ieee_inexact 0
		.amdhsa_exception_int_div_zero 0
	.end_amdhsa_kernel
	.section	.text._ZN2at6native12_GLOBAL__N_145ctc_loss_backward_collect_nonblank_gpu_kernelIdiEEvPT_PKS3_lS6_S6_S6_PKlPKT0_S8_S6_llllllllllllS8_llb,"axG",@progbits,_ZN2at6native12_GLOBAL__N_145ctc_loss_backward_collect_nonblank_gpu_kernelIdiEEvPT_PKS3_lS6_S6_S6_PKlPKT0_S8_S6_llllllllllllS8_llb,comdat
.Lfunc_end9:
	.size	_ZN2at6native12_GLOBAL__N_145ctc_loss_backward_collect_nonblank_gpu_kernelIdiEEvPT_PKS3_lS6_S6_S6_PKlPKT0_S8_S6_llllllllllllS8_llb, .Lfunc_end9-_ZN2at6native12_GLOBAL__N_145ctc_loss_backward_collect_nonblank_gpu_kernelIdiEEvPT_PKS3_lS6_S6_S6_PKlPKT0_S8_S6_llllllllllllS8_llb
                                        ; -- End function
	.set _ZN2at6native12_GLOBAL__N_145ctc_loss_backward_collect_nonblank_gpu_kernelIdiEEvPT_PKS3_lS6_S6_S6_PKlPKT0_S8_S6_llllllllllllS8_llb.num_vgpr, 28
	.set _ZN2at6native12_GLOBAL__N_145ctc_loss_backward_collect_nonblank_gpu_kernelIdiEEvPT_PKS3_lS6_S6_S6_PKlPKT0_S8_S6_llllllllllllS8_llb.num_agpr, 0
	.set _ZN2at6native12_GLOBAL__N_145ctc_loss_backward_collect_nonblank_gpu_kernelIdiEEvPT_PKS3_lS6_S6_S6_PKlPKT0_S8_S6_llllllllllllS8_llb.numbered_sgpr, 58
	.set _ZN2at6native12_GLOBAL__N_145ctc_loss_backward_collect_nonblank_gpu_kernelIdiEEvPT_PKS3_lS6_S6_S6_PKlPKT0_S8_S6_llllllllllllS8_llb.num_named_barrier, 0
	.set _ZN2at6native12_GLOBAL__N_145ctc_loss_backward_collect_nonblank_gpu_kernelIdiEEvPT_PKS3_lS6_S6_S6_PKlPKT0_S8_S6_llllllllllllS8_llb.private_seg_size, 0
	.set _ZN2at6native12_GLOBAL__N_145ctc_loss_backward_collect_nonblank_gpu_kernelIdiEEvPT_PKS3_lS6_S6_S6_PKlPKT0_S8_S6_llllllllllllS8_llb.uses_vcc, 1
	.set _ZN2at6native12_GLOBAL__N_145ctc_loss_backward_collect_nonblank_gpu_kernelIdiEEvPT_PKS3_lS6_S6_S6_PKlPKT0_S8_S6_llllllllllllS8_llb.uses_flat_scratch, 0
	.set _ZN2at6native12_GLOBAL__N_145ctc_loss_backward_collect_nonblank_gpu_kernelIdiEEvPT_PKS3_lS6_S6_S6_PKlPKT0_S8_S6_llllllllllllS8_llb.has_dyn_sized_stack, 0
	.set _ZN2at6native12_GLOBAL__N_145ctc_loss_backward_collect_nonblank_gpu_kernelIdiEEvPT_PKS3_lS6_S6_S6_PKlPKT0_S8_S6_llllllllllllS8_llb.has_recursion, 0
	.set _ZN2at6native12_GLOBAL__N_145ctc_loss_backward_collect_nonblank_gpu_kernelIdiEEvPT_PKS3_lS6_S6_S6_PKlPKT0_S8_S6_llllllllllllS8_llb.has_indirect_call, 0
	.section	.AMDGPU.csdata,"",@progbits
; Kernel info:
; codeLenInByte = 1800
; TotalNumSgprs: 60
; NumVgprs: 28
; ScratchSize: 0
; MemoryBound: 0
; FloatMode: 240
; IeeeMode: 1
; LDSByteSize: 0 bytes/workgroup (compile time only)
; SGPRBlocks: 0
; VGPRBlocks: 3
; NumSGPRsForWavesPerEU: 60
; NumVGPRsForWavesPerEU: 28
; Occupancy: 16
; WaveLimiterHint : 1
; COMPUTE_PGM_RSRC2:SCRATCH_EN: 0
; COMPUTE_PGM_RSRC2:USER_SGPR: 2
; COMPUTE_PGM_RSRC2:TRAP_HANDLER: 0
; COMPUTE_PGM_RSRC2:TGID_X_EN: 1
; COMPUTE_PGM_RSRC2:TGID_Y_EN: 1
; COMPUTE_PGM_RSRC2:TGID_Z_EN: 0
; COMPUTE_PGM_RSRC2:TIDIG_COMP_CNT: 1
	.section	.text._ZN2at6native12_GLOBAL__N_136ctc_loss_backward_collect_gpu_kernelIdiEEvPT_PKS3_lS6_S6_S6_PKllPKT0_S8_lS6_llllllllllllS8_llllb,"axG",@progbits,_ZN2at6native12_GLOBAL__N_136ctc_loss_backward_collect_gpu_kernelIdiEEvPT_PKS3_lS6_S6_S6_PKllPKT0_S8_lS6_llllllllllllS8_llllb,comdat
	.globl	_ZN2at6native12_GLOBAL__N_136ctc_loss_backward_collect_gpu_kernelIdiEEvPT_PKS3_lS6_S6_S6_PKllPKT0_S8_lS6_llllllllllllS8_llllb ; -- Begin function _ZN2at6native12_GLOBAL__N_136ctc_loss_backward_collect_gpu_kernelIdiEEvPT_PKS3_lS6_S6_S6_PKllPKT0_S8_lS6_llllllllllllS8_llllb
	.p2align	8
	.type	_ZN2at6native12_GLOBAL__N_136ctc_loss_backward_collect_gpu_kernelIdiEEvPT_PKS3_lS6_S6_S6_PKllPKT0_S8_lS6_llllllllllllS8_llllb,@function
_ZN2at6native12_GLOBAL__N_136ctc_loss_backward_collect_gpu_kernelIdiEEvPT_PKS3_lS6_S6_S6_PKllPKT0_S8_lS6_llllllllllllS8_llllb: ; @_ZN2at6native12_GLOBAL__N_136ctc_loss_backward_collect_gpu_kernelIdiEEvPT_PKS3_lS6_S6_S6_PKllPKT0_S8_lS6_llllllllllllS8_llllb
; %bb.0:
	s_load_b32 s4, s[0:1], 0xfc
	v_bfe_u32 v1, v0, 10, 10
	s_clause 0x1
	s_load_b64 s[2:3], s[0:1], 0x38
	s_load_b256 s[24:31], s[0:1], 0xc8
	v_and_b32_e32 v3, 0x3ff, v0
	s_wait_kmcnt 0x0
	s_lshr_b32 s5, s4, 16
	s_and_b32 s4, s4, 0xffff
	v_mad_co_u64_u32 v[1:2], null, ttmp7, s5, v[1:2]
	v_mov_b32_e32 v2, 0
	s_delay_alu instid0(VALU_DEP_1) | instskip(NEXT) | instid1(VALU_DEP_1)
	v_mov_b32_e32 v4, v2
	v_mad_co_u64_u32 v[3:4], null, s4, ttmp9, v[3:4]
	s_delay_alu instid0(VALU_DEP_1)
	v_cmp_gt_i64_e32 vcc_lo, s[2:3], v[3:4]
	v_cmp_gt_i64_e64 s2, s[26:27], v[1:2]
	s_and_b32 s2, vcc_lo, s2
	s_wait_alu 0xfffe
	s_and_saveexec_b32 s3, s2
	s_cbranch_execz .LBB10_15
; %bb.1:
	s_clause 0x2
	s_load_b64 s[4:5], s[0:1], 0x30
	s_load_b64 s[2:3], s[0:1], 0x50
	;; [unrolled: 1-line block ×3, first 2 shown]
	v_lshlrev_b64_e32 v[7:8], 3, v[1:2]
	s_load_b512 s[8:23], s[0:1], 0x60
	s_wait_kmcnt 0x0
	s_delay_alu instid0(VALU_DEP_1) | instskip(NEXT) | instid1(VALU_DEP_1)
	v_add_co_u32 v5, vcc_lo, s4, v7
	v_add_co_ci_u32_e64 v6, null, s5, v8, vcc_lo
	v_mad_co_u64_u32 v[9:10], null, s10, v1, 0
	v_cmp_lt_i64_e64 s4, s[2:3], 0
	global_load_b64 v[5:6], v[5:6], off
	v_mul_lo_u32 v2, v3, s9
	v_mov_b32_e32 v0, v10
	s_and_b32 vcc_lo, exec_lo, s4
	s_delay_alu instid0(VALU_DEP_1) | instskip(SKIP_2) | instid1(VALU_DEP_2)
	v_mad_co_u64_u32 v[10:11], null, s11, v1, v[0:1]
	v_mul_lo_u32 v0, v4, s8
	s_mov_b64 s[10:11], 0
	v_lshlrev_b64_e32 v[9:10], 3, v[9:10]
	s_wait_alu 0xfffe
	s_cbranch_vccnz .LBB10_10
; %bb.2:
	s_clause 0x3
	s_load_b64 s[34:35], s[0:1], 0xc0
	s_load_b128 s[4:7], s[0:1], 0x40
	s_load_b128 s[44:47], s[0:1], 0x18
	s_load_b256 s[36:43], s[0:1], 0xa0
	v_mul_lo_u32 v21, v4, s22
	v_mul_lo_u32 v22, v3, s23
	v_mad_co_u64_u32 v[19:20], null, v3, s8, 0
	s_mov_b32 s48, 0xfefa39ef
	s_mov_b32 s50, 0x3b39803f
	;; [unrolled: 1-line block ×6, first 2 shown]
	v_add3_u32 v20, v20, v2, v0
	s_mov_b32 s60, 0x14761f6e
	s_mov_b32 s62, 0x1852b7b0
	;; [unrolled: 1-line block ×4, first 2 shown]
	v_lshlrev_b64_e32 v[19:20], 3, v[19:20]
	s_wait_kmcnt 0x0
	v_add_co_u32 v11, vcc_lo, s34, v7
	s_wait_alu 0xfffd
	v_add_co_ci_u32_e64 v12, null, s35, v8, vcc_lo
	v_add_co_u32 v13, vcc_lo, s6, v7
	s_wait_alu 0xfffd
	v_add_co_ci_u32_e64 v14, null, s7, v8, vcc_lo
	global_load_b64 v[15:16], v[11:12], off
	global_load_b64 v[17:18], v[13:14], off
	v_mad_co_u64_u32 v[11:12], null, s20, v1, 0
	v_mad_co_u64_u32 v[13:14], null, v3, s22, 0
	v_add_co_u32 v27, vcc_lo, s26, v9
	v_mul_lo_u32 v29, v4, s40
	v_mul_lo_u32 v30, v3, s41
	v_mad_co_u64_u32 v[25:26], null, v3, s40, 0
	v_mad_co_u64_u32 v[23:24], null, s21, v1, v[12:13]
	v_add3_u32 v14, v14, v22, v21
	v_mad_co_u64_u32 v[21:22], null, s38, v1, 0
	s_wait_alu 0xfffd
	v_add_co_ci_u32_e64 v28, null, s27, v10, vcc_lo
	s_delay_alu instid0(VALU_DEP_3) | instskip(SKIP_4) | instid1(VALU_DEP_3)
	v_lshlrev_b64_e32 v[13:14], 3, v[13:14]
	v_mov_b32_e32 v12, v23
	v_add3_u32 v26, v26, v30, v29
	s_mov_b32 s34, 0x652b82fe
	v_mad_co_u64_u32 v[22:23], null, s39, v1, v[22:23]
	v_lshlrev_b64_e32 v[11:12], 3, v[11:12]
	v_add_co_u32 v23, vcc_lo, v27, v19
	s_wait_alu 0xfffd
	v_add_co_ci_u32_e64 v24, null, v28, v20, vcc_lo
	v_lshlrev_b64_e32 v[19:20], 3, v[25:26]
	s_delay_alu instid0(VALU_DEP_4) | instskip(SKIP_3) | instid1(VALU_DEP_3)
	v_add_co_u32 v11, vcc_lo, s44, v11
	v_lshlrev_b64_e32 v[21:22], 3, v[21:22]
	s_wait_alu 0xfffd
	v_add_co_ci_u32_e64 v12, null, s45, v12, vcc_lo
	v_add_co_u32 v11, vcc_lo, v11, v13
	s_mov_b32 s68, 0x55555511
	s_wait_alu 0xfffd
	v_add_co_ci_u32_e64 v12, null, v12, v14, vcc_lo
	v_add_co_u32 v13, vcc_lo, s46, v21
	s_wait_alu 0xfffd
	v_add_co_ci_u32_e64 v14, null, s47, v22, vcc_lo
	s_mov_b32 s70, 11
	v_add_co_u32 v13, vcc_lo, v13, v19
	s_wait_alu 0xfffd
	v_add_co_ci_u32_e64 v14, null, v14, v20, vcc_lo
	s_mov_b32 s72, 0x55555555
	s_mov_b32 s74, 0x6b47b09a
	;; [unrolled: 1-line block ×7, first 2 shown]
	s_lshl_b64 s[6:7], s[2:3], 1
	s_mov_b32 s23, 0
	s_mov_b32 s35, 0x3ff71547
	;; [unrolled: 1-line block ×21, first 2 shown]
	s_lshl_b64 s[20:21], s[36:37], 3
	s_lshl_b64 s[36:37], s[42:43], 3
	s_mov_b32 s38, 0x55555780
	s_mov_b32 s41, 0x3c7abc9e
	s_wait_loadcnt 0x1
	v_lshlrev_b64_e32 v[21:22], 2, v[15:16]
	s_wait_loadcnt 0x0
	v_lshlrev_b64_e32 v[15:16], 1, v[17:18]
	s_delay_alu instid0(VALU_DEP_2) | instskip(SKIP_1) | instid1(VALU_DEP_3)
	v_add_co_u32 v25, vcc_lo, s4, v21
	s_wait_alu 0xfffd
	v_add_co_ci_u32_e64 v26, null, s5, v22, vcc_lo
	s_mov_b32 s5, 0x3fe62e42
	s_branch .LBB10_5
.LBB10_3:                               ;   in Loop: Header=BB10_5 Depth=1
	s_wait_alu 0xfffe
	s_or_b32 exec_lo, exec_lo, s22
	global_store_b64 v[17:18], v[19:20], off
.LBB10_4:                               ;   in Loop: Header=BB10_5 Depth=1
	s_wait_alu 0xfffe
	s_or_b32 exec_lo, exec_lo, s9
	s_add_nc_u64 s[10:11], s[10:11], 1
	v_add_co_u32 v11, vcc_lo, v11, s20
	s_wait_alu 0xfffe
	v_cmp_lt_i64_e64 s2, s[6:7], s[10:11]
	s_wait_alu 0xfffd
	v_add_co_ci_u32_e64 v12, null, s21, v12, vcc_lo
	v_add_co_u32 v13, vcc_lo, v13, s36
	s_wait_alu 0xfffd
	v_add_co_ci_u32_e64 v14, null, s37, v14, vcc_lo
	s_and_b32 vcc_lo, exec_lo, s2
	s_wait_alu 0xfffe
	s_cbranch_vccnz .LBB10_10
.LBB10_5:                               ; =>This Inner Loop Header: Depth=1
	s_mov_b32 s9, exec_lo
	v_cmpx_le_i64_e64 s[10:11], v[15:16]
	s_cbranch_execz .LBB10_4
; %bb.6:                                ;   in Loop: Header=BB10_5 Depth=1
	v_dual_mov_b32 v17, s30 :: v_dual_mov_b32 v18, s31
	s_and_b32 s22, s10, 1
	s_wait_alu 0xfffe
	s_cmp_eq_u64 s[22:23], 0
	s_cbranch_scc1 .LBB10_8
; %bb.7:                                ;   in Loop: Header=BB10_5 Depth=1
	s_lshr_b64 s[2:3], s[10:11], 1
	s_wait_alu 0xfffe
	s_mul_u64 s[2:3], s[24:25], s[2:3]
	s_wait_alu 0xfffe
	s_lshl_b64 s[2:3], s[2:3], 2
	s_wait_alu 0xfffe
	v_add_co_u32 v17, vcc_lo, v25, s2
	s_wait_alu 0xfffd
	v_add_co_ci_u32_e64 v18, null, s3, v26, vcc_lo
	global_load_b32 v17, v[17:18], off
	s_wait_loadcnt 0x0
	v_ashrrev_i32_e32 v18, 31, v17
.LBB10_8:                               ;   in Loop: Header=BB10_5 Depth=1
	s_delay_alu instid0(VALU_DEP_1) | instskip(SKIP_4) | instid1(VALU_DEP_1)
	v_mul_lo_u32 v19, v18, s12
	v_mul_lo_u32 v20, v17, s13
	v_mad_co_u64_u32 v[17:18], null, v17, s12, 0
	s_mov_b32 s22, exec_lo
	v_add3_u32 v18, v18, v20, v19
	v_lshlrev_b64_e32 v[17:18], 3, v[17:18]
	s_delay_alu instid0(VALU_DEP_1) | instskip(SKIP_1) | instid1(VALU_DEP_2)
	v_add_co_u32 v17, vcc_lo, v23, v17
	s_wait_alu 0xfffd
	v_add_co_ci_u32_e64 v18, null, v24, v18, vcc_lo
	global_load_b64 v[19:20], v[11:12], off
	global_load_b64 v[27:28], v[13:14], off
	;; [unrolled: 1-line block ×3, first 2 shown]
	s_wait_loadcnt 0x1
	v_add_f64_e32 v[19:20], v[19:20], v[27:28]
	s_wait_loadcnt 0x0
	v_cmpx_neq_f64_e32 0xfff00000, v[21:22]
	s_cbranch_execz .LBB10_3
; %bb.9:                                ;   in Loop: Header=BB10_5 Depth=1
	s_delay_alu instid0(VALU_DEP_2) | instskip(SKIP_4) | instid1(VALU_DEP_1)
	v_cmp_gt_f64_e32 vcc_lo, v[21:22], v[19:20]
	s_mov_b32 s39, s73
	s_mov_b32 s40, s50
	s_wait_alu 0xfffd
	v_dual_cndmask_b32 v28, v20, v22 :: v_dual_cndmask_b32 v27, v19, v21
	v_add_f64_e64 v[21:22], v[21:22], -v[27:28]
	v_add_f64_e64 v[19:20], v[19:20], -v[27:28]
	s_delay_alu instid0(VALU_DEP_2) | instskip(NEXT) | instid1(VALU_DEP_2)
	v_mul_f64_e32 v[29:30], s[34:35], v[21:22]
	v_mul_f64_e32 v[31:32], s[34:35], v[19:20]
	v_cmp_nlt_f64_e32 vcc_lo, 0x40900000, v[21:22]
	v_cmp_nlt_f64_e64 s3, 0x40900000, v[19:20]
	v_cmp_ngt_f64_e64 s2, 0xc090cc00, v[21:22]
	v_cmp_ngt_f64_e64 s4, 0xc090cc00, v[19:20]
	v_rndne_f64_e32 v[29:30], v[29:30]
	v_rndne_f64_e32 v[31:32], v[31:32]
	s_delay_alu instid0(VALU_DEP_2) | instskip(NEXT) | instid1(VALU_DEP_2)
	v_fma_f64 v[33:34], v[29:30], s[48:49], v[21:22]
	v_fma_f64 v[35:36], v[31:32], s[48:49], v[19:20]
	v_cvt_i32_f64_e32 v41, v[29:30]
	s_delay_alu instid0(VALU_DEP_3) | instskip(NEXT) | instid1(VALU_DEP_3)
	v_fma_f64 v[33:34], v[29:30], s[50:51], v[33:34]
	v_fma_f64 v[35:36], v[31:32], s[50:51], v[35:36]
	s_delay_alu instid0(VALU_DEP_2) | instskip(NEXT) | instid1(VALU_DEP_2)
	v_fma_f64 v[37:38], v[33:34], s[54:55], s[52:53]
	v_fma_f64 v[39:40], v[35:36], s[54:55], s[52:53]
	s_delay_alu instid0(VALU_DEP_2) | instskip(NEXT) | instid1(VALU_DEP_2)
	v_fma_f64 v[37:38], v[33:34], v[37:38], s[56:57]
	v_fma_f64 v[39:40], v[35:36], v[39:40], s[56:57]
	s_delay_alu instid0(VALU_DEP_2) | instskip(NEXT) | instid1(VALU_DEP_2)
	v_fma_f64 v[37:38], v[33:34], v[37:38], s[58:59]
	v_fma_f64 v[39:40], v[35:36], v[39:40], s[58:59]
	s_delay_alu instid0(VALU_DEP_2) | instskip(NEXT) | instid1(VALU_DEP_2)
	v_fma_f64 v[37:38], v[33:34], v[37:38], s[60:61]
	v_fma_f64 v[39:40], v[35:36], v[39:40], s[60:61]
	s_delay_alu instid0(VALU_DEP_2) | instskip(NEXT) | instid1(VALU_DEP_2)
	v_fma_f64 v[37:38], v[33:34], v[37:38], s[62:63]
	v_fma_f64 v[39:40], v[35:36], v[39:40], s[62:63]
	s_delay_alu instid0(VALU_DEP_2) | instskip(NEXT) | instid1(VALU_DEP_2)
	v_fma_f64 v[37:38], v[33:34], v[37:38], s[64:65]
	v_fma_f64 v[39:40], v[35:36], v[39:40], s[64:65]
	s_delay_alu instid0(VALU_DEP_2) | instskip(NEXT) | instid1(VALU_DEP_2)
	v_fma_f64 v[37:38], v[33:34], v[37:38], s[66:67]
	v_fma_f64 v[39:40], v[35:36], v[39:40], s[66:67]
	s_delay_alu instid0(VALU_DEP_2) | instskip(NEXT) | instid1(VALU_DEP_2)
	v_fma_f64 v[37:38], v[33:34], v[37:38], s[68:69]
	v_fma_f64 v[39:40], v[35:36], v[39:40], s[68:69]
	s_delay_alu instid0(VALU_DEP_2) | instskip(NEXT) | instid1(VALU_DEP_2)
	v_fma_f64 v[37:38], v[33:34], v[37:38], s[70:71]
	v_fma_f64 v[39:40], v[35:36], v[39:40], s[70:71]
	s_delay_alu instid0(VALU_DEP_2) | instskip(NEXT) | instid1(VALU_DEP_2)
	v_fma_f64 v[37:38], v[33:34], v[37:38], 1.0
	v_fma_f64 v[39:40], v[35:36], v[39:40], 1.0
	s_delay_alu instid0(VALU_DEP_2) | instskip(SKIP_1) | instid1(VALU_DEP_3)
	v_fma_f64 v[29:30], v[33:34], v[37:38], 1.0
	v_cvt_i32_f64_e32 v33, v[31:32]
	v_fma_f64 v[31:32], v[35:36], v[39:40], 1.0
	s_delay_alu instid0(VALU_DEP_3) | instskip(NEXT) | instid1(VALU_DEP_2)
	v_ldexp_f64 v[29:30], v[29:30], v41
	v_ldexp_f64 v[31:32], v[31:32], v33
	s_wait_alu 0xfffd
	s_delay_alu instid0(VALU_DEP_2) | instskip(SKIP_1) | instid1(VALU_DEP_2)
	v_cndmask_b32_e32 v30, 0x7ff00000, v30, vcc_lo
	s_and_b32 vcc_lo, s2, vcc_lo
	v_cndmask_b32_e64 v21, 0x7ff00000, v32, s3
	s_wait_alu 0xfffe
	s_delay_alu instid0(VALU_DEP_4)
	v_cndmask_b32_e32 v19, 0, v29, vcc_lo
	s_and_b32 vcc_lo, s4, s3
	v_cndmask_b32_e64 v20, 0, v30, s2
	v_cndmask_b32_e64 v22, 0, v21, s4
	s_wait_alu 0xfffe
	v_cndmask_b32_e32 v21, 0, v31, vcc_lo
	s_mov_b32 s4, s48
	s_delay_alu instid0(VALU_DEP_1) | instskip(NEXT) | instid1(VALU_DEP_1)
	v_add_f64_e32 v[19:20], v[19:20], v[21:22]
	v_frexp_mant_f64_e32 v[21:22], v[19:20]
	s_delay_alu instid0(VALU_DEP_1) | instskip(SKIP_2) | instid1(VALU_DEP_1)
	v_cmp_gt_f64_e32 vcc_lo, s[72:73], v[21:22]
	s_wait_alu 0xfffd
	v_cndmask_b32_e64 v29, 0, 1, vcc_lo
	v_ldexp_f64 v[21:22], v[21:22], v29
	s_delay_alu instid0(VALU_DEP_1) | instskip(SKIP_1) | instid1(VALU_DEP_2)
	v_add_f64_e32 v[29:30], 1.0, v[21:22]
	v_add_f64_e32 v[35:36], -1.0, v[21:22]
	v_rcp_f64_e32 v[31:32], v[29:30]
	v_add_f64_e32 v[37:38], -1.0, v[29:30]
	s_delay_alu instid0(VALU_DEP_1) | instskip(NEXT) | instid1(TRANS32_DEP_1)
	v_add_f64_e64 v[21:22], v[21:22], -v[37:38]
	v_fma_f64 v[33:34], -v[29:30], v[31:32], 1.0
	s_delay_alu instid0(VALU_DEP_1) | instskip(NEXT) | instid1(VALU_DEP_1)
	v_fma_f64 v[31:32], v[33:34], v[31:32], v[31:32]
	v_fma_f64 v[33:34], -v[29:30], v[31:32], 1.0
	s_delay_alu instid0(VALU_DEP_1) | instskip(NEXT) | instid1(VALU_DEP_1)
	v_fma_f64 v[31:32], v[33:34], v[31:32], v[31:32]
	v_mul_f64_e32 v[33:34], v[35:36], v[31:32]
	s_delay_alu instid0(VALU_DEP_1) | instskip(NEXT) | instid1(VALU_DEP_1)
	v_mul_f64_e32 v[39:40], v[29:30], v[33:34]
	v_fma_f64 v[29:30], v[33:34], v[29:30], -v[39:40]
	s_delay_alu instid0(VALU_DEP_1) | instskip(NEXT) | instid1(VALU_DEP_1)
	v_fma_f64 v[21:22], v[33:34], v[21:22], v[29:30]
	v_add_f64_e32 v[29:30], v[39:40], v[21:22]
	s_delay_alu instid0(VALU_DEP_1) | instskip(SKIP_1) | instid1(VALU_DEP_2)
	v_add_f64_e64 v[37:38], v[35:36], -v[29:30]
	v_add_f64_e64 v[39:40], v[29:30], -v[39:40]
	;; [unrolled: 1-line block ×3, first 2 shown]
	s_delay_alu instid0(VALU_DEP_2) | instskip(SKIP_1) | instid1(VALU_DEP_3)
	v_add_f64_e64 v[21:22], v[39:40], -v[21:22]
	v_frexp_exp_i32_f64_e32 v39, v[19:20]
	v_add_f64_e64 v[29:30], v[35:36], -v[29:30]
	s_delay_alu instid0(VALU_DEP_1) | instskip(NEXT) | instid1(VALU_DEP_1)
	v_add_f64_e32 v[21:22], v[21:22], v[29:30]
	v_add_f64_e32 v[21:22], v[37:38], v[21:22]
	s_delay_alu instid0(VALU_DEP_1) | instskip(NEXT) | instid1(VALU_DEP_1)
	v_mul_f64_e32 v[21:22], v[31:32], v[21:22]
	v_add_f64_e32 v[29:30], v[33:34], v[21:22]
	s_delay_alu instid0(VALU_DEP_1) | instskip(NEXT) | instid1(VALU_DEP_1)
	v_mul_f64_e32 v[31:32], v[29:30], v[29:30]
	v_fma_f64 v[35:36], v[31:32], s[76:77], s[74:75]
	v_mul_f64_e32 v[37:38], v[29:30], v[31:32]
	s_delay_alu instid0(VALU_DEP_2) | instskip(NEXT) | instid1(VALU_DEP_1)
	v_fma_f64 v[35:36], v[31:32], v[35:36], s[78:79]
	v_fma_f64 v[35:36], v[31:32], v[35:36], s[80:81]
	s_delay_alu instid0(VALU_DEP_1) | instskip(NEXT) | instid1(VALU_DEP_1)
	v_fma_f64 v[35:36], v[31:32], v[35:36], s[82:83]
	v_fma_f64 v[35:36], v[31:32], v[35:36], s[84:85]
	s_delay_alu instid0(VALU_DEP_1) | instskip(SKIP_2) | instid1(VALU_DEP_3)
	v_fma_f64 v[31:32], v[31:32], v[35:36], s[38:39]
	v_ldexp_f64 v[35:36], v[29:30], 1
	v_add_f64_e64 v[29:30], v[29:30], -v[33:34]
	v_mul_f64_e32 v[31:32], v[37:38], v[31:32]
	v_subrev_co_ci_u32_e64 v37, null, 0, v39, vcc_lo
	s_delay_alu instid0(VALU_DEP_3) | instskip(SKIP_1) | instid1(VALU_DEP_3)
	v_add_f64_e64 v[21:22], v[21:22], -v[29:30]
	v_cmp_class_f64_e64 vcc_lo, v[19:20], 0x204
	v_cvt_f64_i32_e32 v[37:38], v37
	v_add_f64_e32 v[33:34], v[35:36], v[31:32]
	s_delay_alu instid0(VALU_DEP_4) | instskip(SKIP_1) | instid1(VALU_DEP_3)
	v_ldexp_f64 v[21:22], v[21:22], 1
	s_wait_alu 0xfffe
	v_mul_f64_e32 v[39:40], s[4:5], v[37:38]
	s_delay_alu instid0(VALU_DEP_3) | instskip(NEXT) | instid1(VALU_DEP_2)
	v_add_f64_e64 v[29:30], v[33:34], -v[35:36]
	v_fma_f64 v[35:36], v[37:38], s[4:5], -v[39:40]
	s_delay_alu instid0(VALU_DEP_2) | instskip(NEXT) | instid1(VALU_DEP_2)
	v_add_f64_e64 v[29:30], v[31:32], -v[29:30]
	v_fma_f64 v[31:32], v[37:38], s[40:41], v[35:36]
	s_delay_alu instid0(VALU_DEP_2) | instskip(NEXT) | instid1(VALU_DEP_2)
	v_add_f64_e32 v[21:22], v[21:22], v[29:30]
	v_add_f64_e32 v[29:30], v[39:40], v[31:32]
	s_delay_alu instid0(VALU_DEP_2) | instskip(NEXT) | instid1(VALU_DEP_2)
	v_add_f64_e32 v[35:36], v[33:34], v[21:22]
	v_add_f64_e64 v[39:40], v[29:30], -v[39:40]
	s_delay_alu instid0(VALU_DEP_2) | instskip(SKIP_1) | instid1(VALU_DEP_3)
	v_add_f64_e32 v[37:38], v[29:30], v[35:36]
	v_add_f64_e64 v[33:34], v[35:36], -v[33:34]
	v_add_f64_e64 v[31:32], v[31:32], -v[39:40]
	s_delay_alu instid0(VALU_DEP_3) | instskip(NEXT) | instid1(VALU_DEP_3)
	v_add_f64_e64 v[41:42], v[37:38], -v[29:30]
	v_add_f64_e64 v[21:22], v[21:22], -v[33:34]
	s_delay_alu instid0(VALU_DEP_2) | instskip(SKIP_1) | instid1(VALU_DEP_3)
	v_add_f64_e64 v[43:44], v[37:38], -v[41:42]
	v_add_f64_e64 v[33:34], v[35:36], -v[41:42]
	v_add_f64_e32 v[35:36], v[31:32], v[21:22]
	s_delay_alu instid0(VALU_DEP_3) | instskip(NEXT) | instid1(VALU_DEP_1)
	v_add_f64_e64 v[29:30], v[29:30], -v[43:44]
	v_add_f64_e32 v[29:30], v[33:34], v[29:30]
	s_delay_alu instid0(VALU_DEP_3) | instskip(NEXT) | instid1(VALU_DEP_2)
	v_add_f64_e64 v[33:34], v[35:36], -v[31:32]
	v_add_f64_e32 v[29:30], v[35:36], v[29:30]
	s_delay_alu instid0(VALU_DEP_2) | instskip(SKIP_1) | instid1(VALU_DEP_3)
	v_add_f64_e64 v[35:36], v[35:36], -v[33:34]
	v_add_f64_e64 v[21:22], v[21:22], -v[33:34]
	v_add_f64_e32 v[39:40], v[37:38], v[29:30]
	s_delay_alu instid0(VALU_DEP_3) | instskip(NEXT) | instid1(VALU_DEP_2)
	v_add_f64_e64 v[31:32], v[31:32], -v[35:36]
	v_add_f64_e64 v[33:34], v[39:40], -v[37:38]
	s_delay_alu instid0(VALU_DEP_2) | instskip(NEXT) | instid1(VALU_DEP_2)
	v_add_f64_e32 v[21:22], v[21:22], v[31:32]
	v_add_f64_e64 v[29:30], v[29:30], -v[33:34]
	s_delay_alu instid0(VALU_DEP_1) | instskip(NEXT) | instid1(VALU_DEP_1)
	v_add_f64_e32 v[21:22], v[21:22], v[29:30]
	v_add_f64_e32 v[21:22], v[39:40], v[21:22]
	s_wait_alu 0xfffd
	s_delay_alu instid0(VALU_DEP_1) | instskip(SKIP_2) | instid1(VALU_DEP_2)
	v_dual_cndmask_b32 v21, v21, v19 :: v_dual_cndmask_b32 v22, v22, v20
	v_cmp_ngt_f64_e32 vcc_lo, 0, v[19:20]
	s_wait_alu 0xfffd
	v_cndmask_b32_e32 v22, 0x7ff80000, v22, vcc_lo
	v_cmp_nge_f64_e32 vcc_lo, 0, v[19:20]
	s_wait_alu 0xfffd
	v_cndmask_b32_e32 v21, 0, v21, vcc_lo
	v_cmp_neq_f64_e32 vcc_lo, 0, v[19:20]
	s_wait_alu 0xfffd
	v_cndmask_b32_e32 v22, 0xfff00000, v22, vcc_lo
	s_delay_alu instid0(VALU_DEP_1)
	v_add_f64_e32 v[19:20], v[27:28], v[21:22]
	s_branch .LBB10_3
.LBB10_10:
	v_cmp_lt_i64_e64 s2, s[28:29], 1
	s_and_b32 vcc_lo, exec_lo, s2
	s_wait_alu 0xfffe
	s_cbranch_vccnz .LBB10_15
; %bb.11:
	s_clause 0x2
	s_load_b64 s[2:3], s[0:1], 0x58
	s_load_b128 s[4:7], s[0:1], 0x8
	s_load_b32 s33, s[0:1], 0xe8
	v_mad_co_u64_u32 v[15:16], null, v3, s8, 0
	v_mul_lo_u32 v17, v4, s14
	v_mul_lo_u32 v18, v3, s15
	s_mov_b32 s8, 0x3b39803f
	s_mov_b32 s10, 0xfca7ab0c
	;; [unrolled: 1-line block ×4, first 2 shown]
	s_delay_alu instid0(VALU_DEP_3)
	v_add3_u32 v16, v16, v2, v0
	s_mov_b32 s24, 0x14761f6e
	s_mov_b32 s30, 0x11122322
	;; [unrolled: 1-line block ×8, first 2 shown]
	s_wait_kmcnt 0x0
	v_add_co_u32 v7, vcc_lo, s2, v7
	s_wait_alu 0xfffd
	v_add_co_ci_u32_e64 v8, null, s3, v8, vcc_lo
	v_mad_co_u64_u32 v[11:12], null, s6, v1, 0
	s_load_b64 s[2:3], s[0:1], 0x28
	global_load_b64 v[7:8], v[7:8], off
	s_bitcmp1_b32 s33, 0
	s_mov_b32 s25, 0x3f2a01a0
	s_cselect_b32 s33, -1, 0
	s_mov_b32 s31, 0x3f811111
	v_mad_co_u64_u32 v[12:13], null, s7, v1, v[12:13]
	v_mad_co_u64_u32 v[13:14], null, s16, v1, 0
	s_mov_b32 s6, 0xfefa39ef
	s_mov_b32 s7, 0xbfe62e42
	;; [unrolled: 1-line block ×4, first 2 shown]
	v_lshlrev_b64_e32 v[11:12], 3, v[11:12]
	s_lshl_b64 s[18:19], s[18:19], 3
	s_lshl_b64 s[12:13], s[12:13], 3
	s_delay_alu instid0(VALU_DEP_1) | instskip(SKIP_1) | instid1(VALU_DEP_2)
	v_add_co_u32 v11, vcc_lo, s4, v11
	s_wait_alu 0xfffd
	v_add_co_ci_u32_e64 v12, null, s5, v12, vcc_lo
	v_add_co_u32 v9, vcc_lo, s26, v9
	s_wait_alu 0xfffd
	v_add_co_ci_u32_e64 v10, null, s27, v10, vcc_lo
	global_load_b64 v[11:12], v[11:12], off
	s_wait_loadcnt 0x2
	v_cmp_lt_i64_e32 vcc_lo, v[3:4], v[5:6]
	v_mov_b32_e32 v5, v14
	v_mad_co_u64_u32 v[3:4], null, v3, s14, 0
	s_mov_b32 s4, 0x652b82fe
	s_mov_b32 s14, 0x6a5dcb37
	v_mad_co_u64_u32 v[5:6], null, s17, v1, v[5:6]
	v_lshlrev_b64_e32 v[0:1], 3, v[15:16]
	s_mov_b32 s26, 0x1852b7b0
	v_add3_u32 v4, v4, v18, v17
	s_mov_b32 s16, 0x555502a1
	s_mov_b32 s5, 0x3ff71547
	;; [unrolled: 1-line block ×3, first 2 shown]
	s_delay_alu instid0(VALU_DEP_3)
	v_mov_b32_e32 v14, v5
	v_lshlrev_b64_e32 v[2:3], 3, v[3:4]
	v_add_co_u32 v0, s1, v9, v0
	s_wait_alu 0xf1ff
	v_add_co_ci_u32_e64 v1, null, v10, v1, s1
	v_lshlrev_b64_e32 v[4:5], 3, v[13:14]
	s_mov_b32 s27, 0x3f56c16c
	s_mov_b32 s17, 0x3fa55555
	s_wait_kmcnt 0x0
	s_delay_alu instid0(VALU_DEP_1)
	v_add_co_u32 v4, s1, s2, v4
	s_wait_alu 0xf1ff
	v_add_co_ci_u32_e64 v5, null, s3, v5, s1
	s_xor_b32 s2, s33, -1
	v_add_co_u32 v2, s1, v4, v2
	s_wait_alu 0xf1ff
	v_add_co_ci_u32_e64 v3, null, v5, v3, s1
	s_wait_loadcnt 0x1
	v_cmp_neq_f64_e64 s0, 0x7ff00000, v[7:8]
	s_wait_alu 0xfffe
	s_or_b32 s0, s2, s0
	s_wait_alu 0xfffe
	s_and_b32 s3, vcc_lo, s0
	s_branch .LBB10_13
.LBB10_12:                              ;   in Loop: Header=BB10_13 Depth=1
	s_or_b32 exec_lo, exec_lo, s33
	v_add_co_u32 v2, vcc_lo, v2, s18
	global_store_b64 v[0:1], v[4:5], off
	s_wait_alu 0xfffd
	v_add_co_ci_u32_e64 v3, null, s19, v3, vcc_lo
	v_add_co_u32 v0, vcc_lo, v0, s12
	s_wait_alu 0xfffd
	v_add_co_ci_u32_e64 v1, null, s13, v1, vcc_lo
	s_add_nc_u64 s[28:29], s[28:29], -1
	s_wait_alu 0xfffe
	s_cmp_lg_u64 s[28:29], 0
	s_cbranch_scc0 .LBB10_15
.LBB10_13:                              ; =>This Inner Loop Header: Depth=1
	v_mov_b32_e32 v4, 0
	v_mov_b32_e32 v5, 0
	s_wait_alu 0xfffe
	s_and_saveexec_b32 s33, s3
	s_cbranch_execz .LBB10_12
; %bb.14:                               ;   in Loop: Header=BB10_13 Depth=1
	global_load_b64 v[4:5], v[0:1], off
	global_load_b64 v[9:10], v[2:3], off
	s_wait_loadcnt 0x1
	v_add_f64_e32 v[4:5], v[7:8], v[4:5]
	s_wait_loadcnt 0x0
	v_mul_f64_e32 v[13:14], s[4:5], v[9:10]
	v_cmp_nlt_f64_e32 vcc_lo, 0x40900000, v[9:10]
	v_cmp_ngt_f64_e64 s0, 0xc090cc00, v[9:10]
	s_delay_alu instid0(VALU_DEP_4) | instskip(NEXT) | instid1(VALU_DEP_4)
	v_add_f64_e64 v[4:5], v[4:5], -v[9:10]
	v_rndne_f64_e32 v[13:14], v[13:14]
	s_delay_alu instid0(VALU_DEP_2) | instskip(NEXT) | instid1(VALU_DEP_2)
	v_mul_f64_e32 v[15:16], s[4:5], v[4:5]
	v_fma_f64 v[17:18], v[13:14], s[6:7], v[9:10]
	v_cvt_i32_f64_e32 v6, v[13:14]
	v_cmp_nlt_f64_e64 s1, 0x40900000, v[4:5]
	v_cmp_ngt_f64_e64 s2, 0xc090cc00, v[4:5]
	v_rndne_f64_e32 v[15:16], v[15:16]
	v_fma_f64 v[17:18], v[13:14], s[8:9], v[17:18]
	s_delay_alu instid0(VALU_DEP_2) | instskip(NEXT) | instid1(VALU_DEP_2)
	v_fma_f64 v[19:20], v[15:16], s[6:7], v[4:5]
	v_fma_f64 v[21:22], v[17:18], s[14:15], s[10:11]
	s_delay_alu instid0(VALU_DEP_2) | instskip(NEXT) | instid1(VALU_DEP_2)
	v_fma_f64 v[19:20], v[15:16], s[8:9], v[19:20]
	;; [unrolled: 3-line block ×10, first 2 shown]
	v_fma_f64 v[21:22], v[17:18], v[21:22], 1.0
	s_delay_alu instid0(VALU_DEP_2) | instskip(NEXT) | instid1(VALU_DEP_2)
	v_fma_f64 v[23:24], v[19:20], v[23:24], s[36:37]
	v_fma_f64 v[13:14], v[17:18], v[21:22], 1.0
	v_cvt_i32_f64_e32 v17, v[15:16]
	s_delay_alu instid0(VALU_DEP_3) | instskip(NEXT) | instid1(VALU_DEP_3)
	v_fma_f64 v[23:24], v[19:20], v[23:24], 1.0
	v_ldexp_f64 v[13:14], v[13:14], v6
	s_delay_alu instid0(VALU_DEP_2) | instskip(SKIP_1) | instid1(VALU_DEP_2)
	v_fma_f64 v[15:16], v[19:20], v[23:24], 1.0
	s_wait_alu 0xfffd
	v_cndmask_b32_e32 v6, 0x7ff00000, v14, vcc_lo
	s_and_b32 vcc_lo, s0, vcc_lo
	s_delay_alu instid0(VALU_DEP_1) | instskip(NEXT) | instid1(VALU_DEP_3)
	v_cndmask_b32_e64 v5, 0, v6, s0
	v_ldexp_f64 v[15:16], v[15:16], v17
	s_wait_alu 0xfffe
	v_cndmask_b32_e32 v4, 0, v13, vcc_lo
	s_and_b32 vcc_lo, s2, s1
	s_delay_alu instid0(VALU_DEP_2) | instskip(NEXT) | instid1(VALU_DEP_1)
	v_cndmask_b32_e64 v9, 0x7ff00000, v16, s1
	v_cndmask_b32_e64 v10, 0, v9, s2
	s_wait_alu 0xfffe
	s_delay_alu instid0(VALU_DEP_4) | instskip(NEXT) | instid1(VALU_DEP_1)
	v_cndmask_b32_e32 v9, 0, v15, vcc_lo
	v_add_f64_e64 v[4:5], v[4:5], -v[9:10]
	s_delay_alu instid0(VALU_DEP_1)
	v_mul_f64_e32 v[4:5], v[11:12], v[4:5]
	s_branch .LBB10_12
.LBB10_15:
	s_endpgm
	.section	.rodata,"a",@progbits
	.p2align	6, 0x0
	.amdhsa_kernel _ZN2at6native12_GLOBAL__N_136ctc_loss_backward_collect_gpu_kernelIdiEEvPT_PKS3_lS6_S6_S6_PKllPKT0_S8_lS6_llllllllllllS8_llllb
		.amdhsa_group_segment_fixed_size 0
		.amdhsa_private_segment_fixed_size 0
		.amdhsa_kernarg_size 496
		.amdhsa_user_sgpr_count 2
		.amdhsa_user_sgpr_dispatch_ptr 0
		.amdhsa_user_sgpr_queue_ptr 0
		.amdhsa_user_sgpr_kernarg_segment_ptr 1
		.amdhsa_user_sgpr_dispatch_id 0
		.amdhsa_user_sgpr_private_segment_size 0
		.amdhsa_wavefront_size32 1
		.amdhsa_uses_dynamic_stack 0
		.amdhsa_enable_private_segment 0
		.amdhsa_system_sgpr_workgroup_id_x 1
		.amdhsa_system_sgpr_workgroup_id_y 1
		.amdhsa_system_sgpr_workgroup_id_z 0
		.amdhsa_system_sgpr_workgroup_info 0
		.amdhsa_system_vgpr_workitem_id 1
		.amdhsa_next_free_vgpr 45
		.amdhsa_next_free_sgpr 86
		.amdhsa_reserve_vcc 1
		.amdhsa_float_round_mode_32 0
		.amdhsa_float_round_mode_16_64 0
		.amdhsa_float_denorm_mode_32 3
		.amdhsa_float_denorm_mode_16_64 3
		.amdhsa_fp16_overflow 0
		.amdhsa_workgroup_processor_mode 1
		.amdhsa_memory_ordered 1
		.amdhsa_forward_progress 1
		.amdhsa_inst_pref_size 29
		.amdhsa_round_robin_scheduling 0
		.amdhsa_exception_fp_ieee_invalid_op 0
		.amdhsa_exception_fp_denorm_src 0
		.amdhsa_exception_fp_ieee_div_zero 0
		.amdhsa_exception_fp_ieee_overflow 0
		.amdhsa_exception_fp_ieee_underflow 0
		.amdhsa_exception_fp_ieee_inexact 0
		.amdhsa_exception_int_div_zero 0
	.end_amdhsa_kernel
	.section	.text._ZN2at6native12_GLOBAL__N_136ctc_loss_backward_collect_gpu_kernelIdiEEvPT_PKS3_lS6_S6_S6_PKllPKT0_S8_lS6_llllllllllllS8_llllb,"axG",@progbits,_ZN2at6native12_GLOBAL__N_136ctc_loss_backward_collect_gpu_kernelIdiEEvPT_PKS3_lS6_S6_S6_PKllPKT0_S8_lS6_llllllllllllS8_llllb,comdat
.Lfunc_end10:
	.size	_ZN2at6native12_GLOBAL__N_136ctc_loss_backward_collect_gpu_kernelIdiEEvPT_PKS3_lS6_S6_S6_PKllPKT0_S8_lS6_llllllllllllS8_llllb, .Lfunc_end10-_ZN2at6native12_GLOBAL__N_136ctc_loss_backward_collect_gpu_kernelIdiEEvPT_PKS3_lS6_S6_S6_PKllPKT0_S8_lS6_llllllllllllS8_llllb
                                        ; -- End function
	.set _ZN2at6native12_GLOBAL__N_136ctc_loss_backward_collect_gpu_kernelIdiEEvPT_PKS3_lS6_S6_S6_PKllPKT0_S8_lS6_llllllllllllS8_llllb.num_vgpr, 45
	.set _ZN2at6native12_GLOBAL__N_136ctc_loss_backward_collect_gpu_kernelIdiEEvPT_PKS3_lS6_S6_S6_PKllPKT0_S8_lS6_llllllllllllS8_llllb.num_agpr, 0
	.set _ZN2at6native12_GLOBAL__N_136ctc_loss_backward_collect_gpu_kernelIdiEEvPT_PKS3_lS6_S6_S6_PKllPKT0_S8_lS6_llllllllllllS8_llllb.numbered_sgpr, 86
	.set _ZN2at6native12_GLOBAL__N_136ctc_loss_backward_collect_gpu_kernelIdiEEvPT_PKS3_lS6_S6_S6_PKllPKT0_S8_lS6_llllllllllllS8_llllb.num_named_barrier, 0
	.set _ZN2at6native12_GLOBAL__N_136ctc_loss_backward_collect_gpu_kernelIdiEEvPT_PKS3_lS6_S6_S6_PKllPKT0_S8_lS6_llllllllllllS8_llllb.private_seg_size, 0
	.set _ZN2at6native12_GLOBAL__N_136ctc_loss_backward_collect_gpu_kernelIdiEEvPT_PKS3_lS6_S6_S6_PKllPKT0_S8_lS6_llllllllllllS8_llllb.uses_vcc, 1
	.set _ZN2at6native12_GLOBAL__N_136ctc_loss_backward_collect_gpu_kernelIdiEEvPT_PKS3_lS6_S6_S6_PKllPKT0_S8_lS6_llllllllllllS8_llllb.uses_flat_scratch, 0
	.set _ZN2at6native12_GLOBAL__N_136ctc_loss_backward_collect_gpu_kernelIdiEEvPT_PKS3_lS6_S6_S6_PKllPKT0_S8_lS6_llllllllllllS8_llllb.has_dyn_sized_stack, 0
	.set _ZN2at6native12_GLOBAL__N_136ctc_loss_backward_collect_gpu_kernelIdiEEvPT_PKS3_lS6_S6_S6_PKllPKT0_S8_lS6_llllllllllllS8_llllb.has_recursion, 0
	.set _ZN2at6native12_GLOBAL__N_136ctc_loss_backward_collect_gpu_kernelIdiEEvPT_PKS3_lS6_S6_S6_PKllPKT0_S8_lS6_llllllllllllS8_llllb.has_indirect_call, 0
	.section	.AMDGPU.csdata,"",@progbits
; Kernel info:
; codeLenInByte = 3704
; TotalNumSgprs: 88
; NumVgprs: 45
; ScratchSize: 0
; MemoryBound: 0
; FloatMode: 240
; IeeeMode: 1
; LDSByteSize: 0 bytes/workgroup (compile time only)
; SGPRBlocks: 0
; VGPRBlocks: 5
; NumSGPRsForWavesPerEU: 88
; NumVGPRsForWavesPerEU: 45
; Occupancy: 16
; WaveLimiterHint : 1
; COMPUTE_PGM_RSRC2:SCRATCH_EN: 0
; COMPUTE_PGM_RSRC2:USER_SGPR: 2
; COMPUTE_PGM_RSRC2:TRAP_HANDLER: 0
; COMPUTE_PGM_RSRC2:TGID_X_EN: 1
; COMPUTE_PGM_RSRC2:TGID_Y_EN: 1
; COMPUTE_PGM_RSRC2:TGID_Z_EN: 0
; COMPUTE_PGM_RSRC2:TIDIG_COMP_CNT: 1
	.section	.text._ZN2at6native12_GLOBAL__N_137ctc_loss_backward_log_beta_gpu_kernelIflEEvPT_PKS3_PKllPKT0_S8_lllllllS8_lll,"axG",@progbits,_ZN2at6native12_GLOBAL__N_137ctc_loss_backward_log_beta_gpu_kernelIflEEvPT_PKS3_PKllPKT0_S8_lllllllS8_lll,comdat
	.globl	_ZN2at6native12_GLOBAL__N_137ctc_loss_backward_log_beta_gpu_kernelIflEEvPT_PKS3_PKllPKT0_S8_lllllllS8_lll ; -- Begin function _ZN2at6native12_GLOBAL__N_137ctc_loss_backward_log_beta_gpu_kernelIflEEvPT_PKS3_PKllPKT0_S8_lllllllS8_lll
	.p2align	8
	.type	_ZN2at6native12_GLOBAL__N_137ctc_loss_backward_log_beta_gpu_kernelIflEEvPT_PKS3_PKllPKT0_S8_lllllllS8_lll,@function
_ZN2at6native12_GLOBAL__N_137ctc_loss_backward_log_beta_gpu_kernelIflEEvPT_PKS3_PKllPKT0_S8_lllllllS8_lll: ; @_ZN2at6native12_GLOBAL__N_137ctc_loss_backward_log_beta_gpu_kernelIflEEvPT_PKS3_PKllPKT0_S8_lllllllS8_lll
; %bb.0:
	s_clause 0x1
	s_load_u16 s2, s[0:1], 0x96
	s_load_b128 s[20:23], s[0:1], 0x70
	v_bfe_u32 v1, v0, 10, 10
	s_wait_kmcnt 0x0
	s_delay_alu instid0(VALU_DEP_1) | instskip(SKIP_2) | instid1(VALU_DEP_1)
	v_mad_co_u64_u32 v[9:10], null, ttmp7, s2, v[1:2]
	v_mov_b32_e32 v10, 0
	s_mov_b32 s2, exec_lo
	v_cmpx_gt_i64_e64 s[22:23], v[9:10]
	s_cbranch_execz .LBB11_43
; %bb.1:
	s_load_b64 s[2:3], s[0:1], 0x10
	v_lshlrev_b64_e32 v[3:4], 3, v[9:10]
	s_wait_kmcnt 0x0
	s_delay_alu instid0(VALU_DEP_1) | instskip(NEXT) | instid1(VALU_DEP_1)
	v_add_co_u32 v1, vcc_lo, s2, v3
	v_add_co_ci_u32_e64 v2, null, s3, v4, vcc_lo
	global_load_b64 v[1:2], v[1:2], off
	s_wait_loadcnt 0x0
	v_cmp_ne_u64_e32 vcc_lo, 0, v[1:2]
	s_and_b32 exec_lo, exec_lo, vcc_lo
	s_cbranch_execz .LBB11_43
; %bb.2:
	s_clause 0x1
	s_load_b64 s[2:3], s[0:1], 0x28
	s_load_b64 s[4:5], s[0:1], 0x68
	s_mov_b32 s23, 0
	s_wait_kmcnt 0x0
	v_add_co_u32 v5, vcc_lo, s2, v3
	s_wait_alu 0xfffd
	v_add_co_ci_u32_e64 v6, null, s3, v4, vcc_lo
	v_add_co_u32 v3, vcc_lo, s4, v3
	s_wait_alu 0xfffd
	v_add_co_ci_u32_e64 v4, null, s5, v4, vcc_lo
	global_load_b64 v[11:12], v[5:6], off
	global_load_b64 v[7:8], v[3:4], off
	s_load_b256 s[4:11], s[0:1], 0x30
	s_add_nc_u64 s[2:3], s[0:1], 0x88
	s_load_b32 s12, s[2:3], 0xc
	s_mov_b32 s2, s23
	s_wait_kmcnt 0x0
	s_lshl_b64 s[28:29], s[4:5], 1
	s_delay_alu instid0(SALU_CYCLE_1)
	s_mov_b32 s3, s29
	s_and_b32 s22, s12, 0xffff
	s_wait_alu 0xfffe
	s_cmp_lg_u64 s[2:3], 0
	s_cbranch_scc0 .LBB11_44
; %bb.3:
	s_add_nc_u64 s[2:3], s[22:23], 0
	s_mov_b32 s15, s23
	s_wait_alu 0xfffe
	s_xor_b64 s[2:3], s[2:3], 0
	s_mov_b32 s19, s23
	s_wait_alu 0xfffe
	s_cvt_f32_u32 s4, s2
	s_cvt_f32_u32 s5, s3
	s_sub_nc_u64 s[12:13], 0, s[2:3]
	s_wait_alu 0xfffe
	s_delay_alu instid0(SALU_CYCLE_1) | instskip(SKIP_1) | instid1(SALU_CYCLE_2)
	s_fmamk_f32 s4, s5, 0x4f800000, s4
	s_wait_alu 0xfffe
	v_s_rcp_f32 s4, s4
	s_delay_alu instid0(TRANS32_DEP_1) | instskip(SKIP_1) | instid1(SALU_CYCLE_2)
	s_mul_f32 s4, s4, 0x5f7ffffc
	s_wait_alu 0xfffe
	s_mul_f32 s5, s4, 0x2f800000
	s_wait_alu 0xfffe
	s_delay_alu instid0(SALU_CYCLE_2) | instskip(SKIP_1) | instid1(SALU_CYCLE_2)
	s_trunc_f32 s5, s5
	s_wait_alu 0xfffe
	s_fmamk_f32 s4, s5, 0xcf800000, s4
	s_cvt_u32_f32 s5, s5
	s_wait_alu 0xfffe
	s_delay_alu instid0(SALU_CYCLE_1) | instskip(SKIP_1) | instid1(SALU_CYCLE_2)
	s_cvt_u32_f32 s4, s4
	s_wait_alu 0xfffe
	s_mul_u64 s[16:17], s[12:13], s[4:5]
	s_delay_alu instid0(SALU_CYCLE_1)
	s_mul_hi_u32 s25, s4, s17
	s_mul_i32 s24, s4, s17
	s_mul_hi_u32 s14, s4, s16
	s_mul_i32 s26, s5, s16
	s_add_nc_u64 s[14:15], s[14:15], s[24:25]
	s_mul_hi_u32 s18, s5, s16
	s_mul_hi_u32 s27, s5, s17
	s_add_co_u32 s14, s14, s26
	s_add_co_ci_u32 s18, s15, s18
	s_mul_i32 s16, s5, s17
	s_add_co_ci_u32 s17, s27, 0
	s_delay_alu instid0(SALU_CYCLE_1) | instskip(SKIP_3) | instid1(SALU_CYCLE_1)
	s_add_nc_u64 s[14:15], s[18:19], s[16:17]
	s_mov_b32 s17, s23
	s_add_co_u32 s4, s4, s14
	s_cselect_b32 s14, -1, 0
	s_cmp_lg_u32 s14, 0
	s_add_co_ci_u32 s5, s5, s15
	s_mov_b32 s15, s23
	s_wait_alu 0xfffe
	s_mul_u64 s[12:13], s[12:13], s[4:5]
	s_delay_alu instid0(SALU_CYCLE_1)
	s_mul_hi_u32 s19, s4, s13
	s_mul_i32 s18, s4, s13
	s_mul_hi_u32 s14, s4, s12
	s_mul_i32 s24, s5, s12
	s_add_nc_u64 s[14:15], s[14:15], s[18:19]
	s_mul_hi_u32 s16, s5, s12
	s_mul_hi_u32 s25, s5, s13
	s_mul_i32 s12, s5, s13
	s_add_co_u32 s13, s14, s24
	s_add_co_ci_u32 s16, s15, s16
	s_add_co_ci_u32 s13, s25, 0
	s_mov_b32 s15, s23
	s_add_nc_u64 s[12:13], s[16:17], s[12:13]
	s_delay_alu instid0(SALU_CYCLE_1)
	s_add_co_u32 s16, s4, s12
	s_cselect_b32 s4, -1, 0
	s_wait_alu 0xfffe
	s_cmp_lg_u32 s4, 0
	s_add_co_ci_u32 s24, s5, s13
	s_ashr_i32 s4, s29, 31
	s_wait_alu 0xfffe
	s_mov_b32 s5, s4
	s_wait_alu 0xfffe
	s_add_nc_u64 s[12:13], s[28:29], s[4:5]
	s_delay_alu instid0(SALU_CYCLE_1) | instskip(NEXT) | instid1(SALU_CYCLE_1)
	s_xor_b64 s[12:13], s[12:13], s[4:5]
	s_mul_hi_u32 s19, s12, s24
	s_mul_i32 s18, s12, s24
	s_mul_hi_u32 s14, s12, s16
	s_mul_hi_u32 s26, s13, s16
	s_mul_i32 s16, s13, s16
	s_add_nc_u64 s[14:15], s[14:15], s[18:19]
	s_mul_hi_u32 s25, s13, s24
	s_add_co_u32 s14, s14, s16
	s_add_co_ci_u32 s16, s15, s26
	s_mul_i32 s18, s13, s24
	s_add_co_ci_u32 s19, s25, 0
	s_delay_alu instid0(SALU_CYCLE_1) | instskip(NEXT) | instid1(SALU_CYCLE_1)
	s_add_nc_u64 s[14:15], s[16:17], s[18:19]
	s_mul_u64 s[14:15], s[2:3], s[14:15]
	s_delay_alu instid0(SALU_CYCLE_1)
	s_sub_co_u32 s12, s12, s14
	s_cselect_b32 s14, -1, 0
	s_sub_co_i32 s16, s13, s15
	s_cmp_lg_u32 s14, 0
	s_sub_co_ci_u32 s16, s16, s3
	s_sub_co_u32 s17, s12, s2
	s_cselect_b32 s18, -1, 0
	s_delay_alu instid0(SALU_CYCLE_1) | instskip(SKIP_1) | instid1(SALU_CYCLE_1)
	s_cmp_lg_u32 s18, 0
	s_sub_co_ci_u32 s19, s16, 0
	s_cmp_ge_u32 s19, s3
	s_cselect_b32 s24, -1, 0
	s_cmp_ge_u32 s17, s2
	s_cselect_b32 s25, -1, 0
	s_cmp_eq_u32 s19, s3
	s_cselect_b32 s24, s25, s24
	s_cmp_lg_u32 s18, 0
	s_sub_co_ci_u32 s16, s16, s3
	s_sub_co_u32 s18, s17, s2
	s_cselect_b32 s25, -1, 0
	s_delay_alu instid0(SALU_CYCLE_1)
	s_cmp_lg_u32 s25, 0
	s_sub_co_ci_u32 s16, s16, 0
	s_cmp_lg_u32 s24, 0
	s_cselect_b32 s17, s18, s17
	s_cselect_b32 s16, s16, s19
	s_cmp_lg_u32 s14, 0
	s_sub_co_ci_u32 s13, s13, s15
	s_delay_alu instid0(SALU_CYCLE_1)
	s_cmp_ge_u32 s13, s3
	s_cselect_b32 s14, -1, 0
	s_cmp_ge_u32 s12, s2
	s_cselect_b32 s2, -1, 0
	s_cmp_eq_u32 s13, s3
	s_wait_alu 0xfffe
	s_cselect_b32 s2, s2, s14
	s_wait_alu 0xfffe
	s_cmp_lg_u32 s2, 0
	s_cselect_b32 s3, s16, s13
	s_cselect_b32 s2, s17, s12
	s_wait_alu 0xfffe
	s_xor_b64 s[2:3], s[2:3], s[4:5]
	s_wait_alu 0xfffe
	s_sub_nc_u64 s[2:3], s[2:3], s[4:5]
	s_mov_b32 s4, s23
	s_wait_alu 0xfffe
	s_and_not1_b32 vcc_lo, exec_lo, s4
	s_wait_alu 0xfffe
	s_cbranch_vccnz .LBB11_5
.LBB11_4:
	v_cvt_f32_u32_e32 v3, s22
	s_sub_co_i32 s3, 0, s22
	s_delay_alu instid0(VALU_DEP_1) | instskip(NEXT) | instid1(TRANS32_DEP_1)
	v_rcp_iflag_f32_e32 v3, v3
	v_mul_f32_e32 v3, 0x4f7ffffe, v3
	s_delay_alu instid0(VALU_DEP_1) | instskip(NEXT) | instid1(VALU_DEP_1)
	v_cvt_u32_f32_e32 v3, v3
	v_readfirstlane_b32 s2, v3
	s_wait_alu 0xfffe
	s_mul_i32 s3, s3, s2
	s_wait_alu 0xfffe
	s_mul_hi_u32 s3, s2, s3
	s_wait_alu 0xfffe
	s_add_co_i32 s2, s2, s3
	s_wait_alu 0xfffe
	s_mul_hi_u32 s2, s28, s2
	s_wait_alu 0xfffe
	s_mul_i32 s2, s2, s22
	s_wait_alu 0xfffe
	s_sub_co_i32 s2, s28, s2
	s_wait_alu 0xfffe
	s_sub_co_i32 s3, s2, s22
	s_cmp_ge_u32 s2, s22
	s_wait_alu 0xfffe
	s_cselect_b32 s2, s3, s2
	s_mov_b32 s3, 0
	s_wait_alu 0xfffe
	s_sub_co_i32 s4, s2, s22
	s_cmp_ge_u32 s2, s22
	s_wait_alu 0xfffe
	s_cselect_b32 s2, s4, s2
.LBB11_5:
	s_wait_alu 0xfffe
	s_sub_nc_u64 s[30:31], s[28:29], s[2:3]
	s_delay_alu instid0(SALU_CYCLE_1)
	v_cmp_lt_i64_e64 s4, s[30:31], 0
	s_and_b32 vcc_lo, exec_lo, s4
	s_wait_alu 0xfffe
	s_cbranch_vccnz .LBB11_43
; %bb.6:
	v_mad_co_u64_u32 v[13:14], null, s8, v9, 0
	s_clause 0x2
	s_load_b64 s[34:35], s[0:1], 0x80
	s_load_b128 s[24:27], s[0:1], 0x0
	s_load_b64 s[4:5], s[0:1], 0x20
	v_add_co_u32 v3, vcc_lo, v1, -1
	s_wait_alu 0xfffd
	v_add_co_ci_u32_e64 v4, null, -1, v2, vcc_lo
	s_load_b256 s[12:19], s[0:1], 0x50
	v_dual_mov_b32 v5, v14 :: v_dual_and_b32 v0, 0x3ff, v0
	v_mul_lo_u32 v10, v4, s6
	v_mul_lo_u32 v19, v3, s7
	s_wait_loadcnt 0x0
	v_lshlrev_b64_e32 v[17:18], 3, v[7:8]
	v_mad_co_u64_u32 v[14:15], null, s9, v9, v[5:6]
	v_mad_co_u64_u32 v[15:16], null, v3, s6, 0
	v_lshlrev_b64_e32 v[5:6], 1, v[11:12]
	s_delay_alu instid0(VALU_DEP_1) | instskip(NEXT) | instid1(VALU_DEP_3)
	v_add_co_u32 v7, vcc_lo, v5, -1
	v_add3_u32 v16, v16, v19, v10
	v_lshlrev_b64_e32 v[19:20], 2, v[13:14]
	s_wait_alu 0xfffd
	s_delay_alu instid0(VALU_DEP_4)
	v_add_co_ci_u32_e64 v8, null, -1, v6, vcc_lo
	s_wait_kmcnt 0x0
	v_add_co_u32 v31, vcc_lo, s4, v17
	v_lshlrev_b64_e32 v[13:14], 2, v[15:16]
	s_wait_alu 0xfffd
	v_add_co_ci_u32_e64 v32, null, s5, v18, vcc_lo
	v_add_co_u32 v10, vcc_lo, s26, v19
	s_wait_alu 0xfffd
	v_add_co_ci_u32_e64 v15, null, s27, v20, vcc_lo
	v_add_co_u32 v16, s4, s28, v0
	s_delay_alu instid0(VALU_DEP_3)
	v_add_co_u32 v29, vcc_lo, v10, v13
	s_wait_alu 0xf1ff
	v_add_co_ci_u32_e64 v10, null, s29, 0, s4
	v_mad_co_u64_u32 v[21:22], null, s12, v9, 0
	s_wait_alu 0xfffd
	v_add_co_ci_u32_e64 v30, null, v15, v14, vcc_lo
	v_sub_co_u32 v13, vcc_lo, v16, s2
	s_wait_alu 0xfffd
	v_subrev_co_ci_u32_e64 v14, null, s3, v10, vcc_lo
	v_mul_lo_u32 v26, s15, v3
	s_delay_alu instid0(VALU_DEP_3) | instskip(SKIP_1) | instid1(VALU_DEP_4)
	v_mul_lo_u32 v24, s17, v13
	v_mad_co_u64_u32 v[15:16], null, s16, v13, 0
	v_mul_lo_u32 v25, s16, v14
	v_mul_lo_u32 v27, s14, v4
	v_mad_co_u64_u32 v[17:18], null, s14, v3, 0
	v_mov_b32_e32 v10, v22
	v_alignbit_b32 v23, v8, v7, 1
	v_lshrrev_b32_e32 v22, 1, v8
	s_mul_u64 s[4:5], s[34:35], s[10:11]
	v_add3_u32 v16, v16, v25, v24
	v_mad_co_u64_u32 v[9:10], null, s13, v9, v[10:11]
	v_mul_lo_u32 v28, v23, s21
	v_add3_u32 v18, v18, v27, v26
	v_mad_co_u64_u32 v[23:24], null, v23, s20, 0
	v_mul_lo_u32 v10, v22, s20
	v_lshlrev_b64_e32 v[15:16], 2, v[15:16]
	s_delay_alu instid0(VALU_DEP_4)
	v_lshlrev_b64_e32 v[25:26], 2, v[17:18]
	v_mov_b32_e32 v22, v9
	s_wait_alu 0xfffe
	s_lshl_b64 s[2:3], s[4:5], 2
	s_wait_alu 0xfffe
	v_add_co_u32 v17, vcc_lo, v29, s2
	v_add3_u32 v24, v24, v28, v10
	v_lshlrev_b64_e32 v[9:10], 2, v[21:22]
	s_wait_alu 0xfffd
	v_add_co_ci_u32_e64 v18, null, s3, v30, vcc_lo
	v_add_co_u32 v25, vcc_lo, v15, v25
	s_wait_alu 0xfffd
	v_add_co_ci_u32_e64 v26, null, v16, v26, vcc_lo
	v_lshlrev_b64_e32 v[21:22], 3, v[23:24]
	s_delay_alu instid0(VALU_DEP_3) | instskip(SKIP_1) | instid1(VALU_DEP_3)
	v_add_co_u32 v23, vcc_lo, v25, v9
	s_wait_alu 0xfffd
	v_add_co_ci_u32_e64 v24, null, v26, v10, vcc_lo
	s_mul_u64 s[2:3], s[16:17], s[22:23]
	v_add_co_u32 v21, vcc_lo, v31, v21
	s_wait_alu 0xfffd
	v_add_co_ci_u32_e64 v22, null, v32, v22, vcc_lo
	v_add_co_u32 v23, vcc_lo, s24, v23
	s_wait_alu 0xfffd
	v_add_co_ci_u32_e64 v24, null, s25, v24, vcc_lo
	v_sub_co_u32 v25, vcc_lo, v5, v0
	s_wait_alu 0xfffd
	v_subrev_co_ci_u32_e64 v26, null, 0, v6, vcc_lo
	s_wait_alu 0xfffe
	s_lshl_b64 s[2:3], s[2:3], 2
	v_add_co_u32 v27, vcc_lo, v25, -1
	s_wait_alu 0xfffd
	v_add_co_ci_u32_e64 v28, null, -1, v26, vcc_lo
	s_wait_alu 0xfffe
	s_sub_nc_u64 s[8:9], 0, s[2:3]
	s_mov_b64 s[2:3], s[30:31]
	s_branch .LBB11_8
.LBB11_7:                               ;   in Loop: Header=BB11_8 Depth=1
	s_wait_alu 0xfffe
	s_or_b32 exec_lo, exec_lo, s4
	s_sub_nc_u64 s[2:3], s[2:3], s[22:23]
	v_add_co_u32 v23, vcc_lo, v23, s8
	s_wait_alu 0xfffe
	v_cmp_lt_i64_e64 s4, s[2:3], 0
	s_wait_alu 0xfffd
	v_add_co_ci_u32_e64 v24, null, s9, v24, vcc_lo
	s_and_b32 vcc_lo, exec_lo, s4
	s_wait_alu 0xfffe
	s_cbranch_vccnz .LBB11_16
.LBB11_8:                               ; =>This Inner Loop Header: Depth=1
	s_mov_b32 s4, exec_lo
                                        ; implicit-def: $vgpr33
	s_wait_alu 0xfffe
	v_cmpx_ne_u64_e64 s[2:3], v[25:26]
	s_xor_b32 s4, exec_lo, s4
	s_cbranch_execz .LBB11_12
; %bb.9:                                ;   in Loop: Header=BB11_8 Depth=1
	s_wait_loadcnt 0x0
	v_mov_b32_e32 v33, 0xff800000
	s_mov_b32 s5, exec_lo
	v_cmpx_eq_u64_e64 s[2:3], v[27:28]
	s_cbranch_execz .LBB11_11
; %bb.10:                               ;   in Loop: Header=BB11_8 Depth=1
	global_load_b64 v[33:34], v[21:22], off
	s_wait_loadcnt 0x0
	v_mul_lo_u32 v35, v34, s10
	v_mul_lo_u32 v36, v33, s11
	v_mad_co_u64_u32 v[33:34], null, v33, s10, 0
	s_delay_alu instid0(VALU_DEP_1) | instskip(NEXT) | instid1(VALU_DEP_1)
	v_add3_u32 v34, v34, v36, v35
	v_lshlrev_b64_e32 v[33:34], 2, v[33:34]
	s_delay_alu instid0(VALU_DEP_1) | instskip(SKIP_1) | instid1(VALU_DEP_2)
	v_add_co_u32 v33, vcc_lo, v29, v33
	s_wait_alu 0xfffd
	v_add_co_ci_u32_e64 v34, null, v30, v34, vcc_lo
	global_load_b32 v33, v[33:34], off
.LBB11_11:                              ;   in Loop: Header=BB11_8 Depth=1
	s_wait_alu 0xfffe
	s_or_b32 exec_lo, exec_lo, s5
.LBB11_12:                              ;   in Loop: Header=BB11_8 Depth=1
	s_wait_alu 0xfffe
	s_and_not1_saveexec_b32 s4, s4
	s_cbranch_execz .LBB11_14
; %bb.13:                               ;   in Loop: Header=BB11_8 Depth=1
	s_wait_loadcnt 0x0
	global_load_b32 v33, v[17:18], off
.LBB11_14:                              ;   in Loop: Header=BB11_8 Depth=1
	s_wait_alu 0xfffe
	s_or_b32 exec_lo, exec_lo, s4
	v_add_co_u32 v34, s4, v0, s2
	s_wait_alu 0xf1ff
	v_add_co_ci_u32_e64 v35, null, 0, s3, s4
	s_mov_b32 s4, exec_lo
	v_cmpx_ge_i64_e64 s[28:29], v[34:35]
	s_cbranch_execz .LBB11_7
; %bb.15:                               ;   in Loop: Header=BB11_8 Depth=1
	s_wait_loadcnt 0x0
	global_store_b32 v[23:24], v33, off
	s_branch .LBB11_7
.LBB11_16:
	s_load_b64 s[2:3], s[0:1], 0x18
	v_add_co_u32 v17, vcc_lo, v13, 2
	s_wait_alu 0xfffd
	v_add_co_ci_u32_e64 v18, null, 0, v14, vcc_lo
	v_lshlrev_b64_e32 v[13:14], 2, v[13:14]
	s_delay_alu instid0(VALU_DEP_3) | instskip(SKIP_1) | instid1(VALU_DEP_3)
	v_mul_lo_u32 v21, s17, v17
	s_lshl_b64 s[4:5], s[14:15], 2
	v_mul_lo_u32 v22, s16, v18
	v_mad_co_u64_u32 v[17:18], null, s16, v17, 0
	s_wait_alu 0xfffe
	s_sub_nc_u64 s[12:13], 0, s[4:5]
	v_add_co_u32 v13, vcc_lo, v13, 4
	s_wait_alu 0xfffd
	v_add_co_ci_u32_e64 v14, null, 0, v14, vcc_lo
	v_cmp_lt_i64_e64 s0, 0, v[11:12]
	s_delay_alu instid0(VALU_DEP_4)
	v_add3_u32 v18, v18, v22, v21
	v_cmp_ne_u64_e64 s1, 0, v[11:12]
	v_mul_lo_u32 v24, s17, v13
	s_wait_kmcnt 0x0
	s_add_nc_u64 s[4:5], s[2:3], -1
	s_add_nc_u64 s[18:19], s[2:3], -2
	s_wait_alu 0xfffe
	s_mul_u64 s[4:5], s[14:15], s[4:5]
	s_mul_u64 s[14:15], s[14:15], s[18:19]
	s_wait_alu 0xfffe
	s_lshl_b64 s[4:5], s[4:5], 2
	s_lshl_b64 s[14:15], s[14:15], 2
	s_wait_alu 0xfffe
	s_add_nc_u64 s[4:5], s[24:25], s[4:5]
	v_lshlrev_b64_e32 v[17:18], 2, v[17:18]
	s_add_nc_u64 s[14:15], s[24:25], s[14:15]
	s_wait_alu 0xfffe
	v_mad_co_u64_u32 v[11:12], null, s16, v13, s[4:5]
	v_add_co_u32 v13, vcc_lo, s14, v15
	v_mul_lo_u32 v23, s16, v14
	s_wait_alu 0xfffd
	v_add_co_ci_u32_e64 v14, null, s15, v16, vcc_lo
	s_mul_u64 s[14:15], s[6:7], s[18:19]
	v_add_co_u32 v15, vcc_lo, s4, v15
	s_wait_alu 0xfffd
	v_add_co_ci_u32_e64 v16, null, s5, v16, vcc_lo
	s_wait_alu 0xfffe
	s_lshl_b64 s[14:15], s[14:15], 2
	v_add_co_u32 v17, vcc_lo, s4, v17
	s_wait_alu 0xfffd
	v_add_co_ci_u32_e64 v18, null, s5, v18, vcc_lo
	s_wait_alu 0xfffe
	s_add_nc_u64 s[4:5], s[26:27], s[14:15]
	v_add3_u32 v12, v24, v12, v23
	s_wait_alu 0xfffe
	v_add_co_u32 v19, vcc_lo, s4, v19
	s_wait_alu 0xfffd
	v_add_co_ci_u32_e64 v20, null, s5, v20, vcc_lo
	v_cmp_gt_i64_e64 s5, s[2:3], 1
	s_lshl_b64 s[2:3], s[6:7], 2
	s_lshl_b64 s[6:7], s[10:11], 2
	s_wait_alu 0xfffe
	s_sub_nc_u64 s[10:11], 0, s[2:3]
	s_branch .LBB11_18
.LBB11_17:                              ;   in Loop: Header=BB11_18 Depth=1
	v_add_co_u32 v13, vcc_lo, v13, s8
	s_wait_alu 0xfffd
	v_add_co_ci_u32_e64 v14, null, s9, v14, vcc_lo
	v_add_co_u32 v11, vcc_lo, v11, s8
	s_sub_nc_u64 s[30:31], s[30:31], s[22:23]
	s_wait_alu 0xfffd
	v_add_co_ci_u32_e64 v12, null, s9, v12, vcc_lo
	v_add_co_u32 v15, vcc_lo, v15, s8
	s_wait_alu 0xfffe
	v_cmp_lt_i64_e64 s2, s[30:31], 0
	s_wait_alu 0xfffd
	v_add_co_ci_u32_e64 v16, null, s9, v16, vcc_lo
	v_add_co_u32 v17, vcc_lo, v17, s8
	s_wait_alu 0xfffd
	v_add_co_ci_u32_e64 v18, null, s9, v18, vcc_lo
	s_and_b32 vcc_lo, exec_lo, s2
	s_wait_alu 0xfffe
	s_cbranch_vccnz .LBB11_43
.LBB11_18:                              ; =>This Loop Header: Depth=1
                                        ;     Child Loop BB11_29 Depth 2
	v_add_co_u32 v23, s2, s30, v0
	s_wait_alu 0xf1ff
	v_add_co_ci_u32_e64 v24, null, s31, 0, s2
	s_wait_loadcnt 0x0
	v_dual_mov_b32 v25, s34 :: v_dual_mov_b32 v26, s35
	s_mov_b32 s16, 0
	s_delay_alu instid0(VALU_DEP_2)
	v_cmp_le_i64_e64 s3, v[23:24], v[5:6]
	s_and_b32 s2, s0, s3
	s_wait_alu 0xfffe
	s_and_saveexec_b32 s4, s2
	s_cbranch_execz .LBB11_26
; %bb.19:                               ;   in Loop: Header=BB11_18 Depth=1
	v_and_b32_e32 v21, 1, v23
	v_dual_mov_b32 v25, s34 :: v_dual_mov_b32 v26, s35
	s_delay_alu instid0(VALU_DEP_2)
	v_cmp_eq_u32_e32 vcc_lo, 1, v21
	s_and_saveexec_b32 s14, vcc_lo
	s_cbranch_execz .LBB11_21
; %bb.20:                               ;   in Loop: Header=BB11_18 Depth=1
	v_alignbit_b32 v21, v24, v23, 1
	v_lshrrev_b32_e32 v25, 1, v24
	s_delay_alu instid0(VALU_DEP_2) | instskip(SKIP_1) | instid1(VALU_DEP_3)
	v_mul_lo_u32 v26, v21, s21
	v_mad_co_u64_u32 v[21:22], null, v21, s20, 0
	v_mul_lo_u32 v25, v25, s20
	s_delay_alu instid0(VALU_DEP_1) | instskip(NEXT) | instid1(VALU_DEP_1)
	v_add3_u32 v22, v22, v26, v25
	v_lshlrev_b64_e32 v[21:22], 3, v[21:22]
	s_delay_alu instid0(VALU_DEP_1) | instskip(SKIP_1) | instid1(VALU_DEP_2)
	v_add_co_u32 v21, s2, v31, v21
	s_wait_alu 0xf1ff
	v_add_co_ci_u32_e64 v22, null, v32, v22, s2
	global_load_b64 v[25:26], v[21:22], off
.LBB11_21:                              ;   in Loop: Header=BB11_18 Depth=1
	s_wait_alu 0xfffe
	s_or_b32 exec_lo, exec_lo, s14
	s_mov_b32 s15, 0
	s_mov_b32 s14, exec_lo
	v_cmpx_lt_i64_e64 v[23:24], v[7:8]
	s_cbranch_execz .LBB11_25
; %bb.22:                               ;   in Loop: Header=BB11_18 Depth=1
	v_dual_mov_b32 v21, s34 :: v_dual_mov_b32 v22, s35
	s_and_saveexec_b32 s2, vcc_lo
	s_cbranch_execz .LBB11_24
; %bb.23:                               ;   in Loop: Header=BB11_18 Depth=1
	v_add_co_u32 v21, vcc_lo, v23, 2
	s_wait_alu 0xfffd
	v_add_co_ci_u32_e64 v22, null, 0, v24, vcc_lo
	s_delay_alu instid0(VALU_DEP_1) | instskip(SKIP_1) | instid1(VALU_DEP_2)
	v_alignbit_b32 v21, v22, v21, 1
	v_lshrrev_b32_e32 v27, 1, v22
	v_mul_lo_u32 v28, v21, s21
	v_mad_co_u64_u32 v[21:22], null, v21, s20, 0
	s_delay_alu instid0(VALU_DEP_3) | instskip(NEXT) | instid1(VALU_DEP_1)
	v_mul_lo_u32 v27, v27, s20
	v_add3_u32 v22, v22, v28, v27
	s_delay_alu instid0(VALU_DEP_1) | instskip(NEXT) | instid1(VALU_DEP_1)
	v_lshlrev_b64_e32 v[21:22], 3, v[21:22]
	v_add_co_u32 v21, vcc_lo, v31, v21
	s_wait_alu 0xfffd
	s_delay_alu instid0(VALU_DEP_2)
	v_add_co_ci_u32_e64 v22, null, v32, v22, vcc_lo
	global_load_b64 v[21:22], v[21:22], off
.LBB11_24:                              ;   in Loop: Header=BB11_18 Depth=1
	s_wait_alu 0xfffe
	s_or_b32 exec_lo, exec_lo, s2
	s_wait_loadcnt 0x0
	v_cmp_ne_u64_e32 vcc_lo, v[21:22], v[25:26]
	s_and_b32 s15, vcc_lo, exec_lo
.LBB11_25:                              ;   in Loop: Header=BB11_18 Depth=1
	s_wait_alu 0xfffe
	s_or_b32 exec_lo, exec_lo, s14
	s_delay_alu instid0(SALU_CYCLE_1)
	s_and_b32 s16, s15, exec_lo
.LBB11_26:                              ;   in Loop: Header=BB11_18 Depth=1
	s_wait_alu 0xfffe
	s_or_b32 exec_lo, exec_lo, s4
	s_delay_alu instid0(SALU_CYCLE_1)
	s_and_not1_b32 vcc_lo, exec_lo, s5
	s_wait_alu 0xfffe
	s_cbranch_vccnz .LBB11_17
; %bb.27:                               ;   in Loop: Header=BB11_18 Depth=1
	s_wait_loadcnt 0x0
	v_mad_co_u64_u32 v[21:22], null, s6, v25, v[19:20]
	v_mul_lo_u32 v26, s6, v26
	v_mul_lo_u32 v25, s7, v25
	v_cmp_gt_i64_e64 s4, 1, v[23:24]
	v_cmp_lt_i64_e64 s2, v[23:24], v[5:6]
	v_cmp_lt_i64_e32 vcc_lo, s[28:29], v[23:24]
	v_dual_mov_b32 v24, v18 :: v_dual_mov_b32 v23, v17
	v_dual_mov_b32 v28, v12 :: v_dual_mov_b32 v27, v11
	v_add3_u32 v22, v25, v22, v26
	v_dual_mov_b32 v26, v16 :: v_dual_mov_b32 v25, v15
	v_dual_mov_b32 v30, v14 :: v_dual_mov_b32 v29, v13
	s_or_b32 s4, s1, s4
	s_xor_b32 s24, s3, -1
	s_wait_alu 0xfffe
	s_and_b32 s17, s4, s3
	s_mov_b64 s[14:15], s[18:19]
	s_branch .LBB11_29
.LBB11_28:                              ;   in Loop: Header=BB11_29 Depth=2
	s_wait_alu 0xfffe
	s_or_b32 exec_lo, exec_lo, s4
	v_add_co_u32 v29, s3, v29, s12
	s_wait_alu 0xf1ff
	v_add_co_ci_u32_e64 v30, null, s13, v30, s3
	v_add_co_u32 v27, s3, v27, s12
	s_wait_alu 0xf1ff
	v_add_co_ci_u32_e64 v28, null, s13, v28, s3
	;; [unrolled: 3-line block ×5, first 2 shown]
	s_add_nc_u64 s[14:15], s[14:15], -1
	s_wait_alu 0xfffe
	s_cmp_eq_u64 s[14:15], -1
	s_cbranch_scc1 .LBB11_17
.LBB11_29:                              ;   Parent Loop BB11_18 Depth=1
                                        ; =>  This Inner Loop Header: Depth=2
	s_wait_alu 0xfffe
	v_cmp_ge_i64_e64 s3, s[14:15], v[3:4]
	s_mov_b32 s25, 0
	s_wait_storecnt 0x0
	s_barrier_signal -1
	s_barrier_wait -1
	global_inv scope:SCOPE_SE
	s_or_b32 s3, s24, s3
	s_wait_alu 0xfffe
	s_and_saveexec_b32 s4, s3
	s_wait_alu 0xfffe
	s_xor_b32 s4, exec_lo, s4
	s_cbranch_execnz .LBB11_32
; %bb.30:                               ;   in Loop: Header=BB11_29 Depth=2
	s_wait_alu 0xfffe
	s_or_saveexec_b32 s26, s4
	v_mov_b32_e32 v33, 0xff800000
	s_wait_alu 0xfffe
	s_xor_b32 exec_lo, exec_lo, s26
	s_cbranch_execnz .LBB11_33
.LBB11_31:                              ;   in Loop: Header=BB11_29 Depth=2
	s_or_b32 exec_lo, exec_lo, s26
	s_and_saveexec_b32 s4, s25
	s_cbranch_execz .LBB11_28
	s_branch .LBB11_42
.LBB11_32:                              ;   in Loop: Header=BB11_29 Depth=2
	v_cmp_lt_i64_e64 s3, s[14:15], v[1:2]
	s_and_b32 s3, s3, s17
	s_wait_alu 0xfffe
	s_nor_b32 s3, vcc_lo, s3
	s_wait_alu 0xfffe
	s_and_b32 s25, s3, exec_lo
	s_or_saveexec_b32 s26, s4
	v_mov_b32_e32 v33, 0xff800000
	s_wait_alu 0xfffe
	s_xor_b32 exec_lo, exec_lo, s26
	s_cbranch_execz .LBB11_31
.LBB11_33:                              ;   in Loop: Header=BB11_29 Depth=2
	v_add_co_u32 v33, s3, v25, v9
	s_wait_alu 0xf1ff
	v_add_co_ci_u32_e64 v34, null, v26, v10, s3
	v_mov_b32_e32 v35, 0xff800000
	global_load_b32 v33, v[33:34], off
	v_mov_b32_e32 v34, 0xff800000
	s_wait_loadcnt 0x0
	v_mov_b32_e32 v36, v33
	s_and_saveexec_b32 s4, s2
	s_cbranch_execz .LBB11_37
; %bb.34:                               ;   in Loop: Header=BB11_29 Depth=2
	v_add_co_u32 v35, s3, v27, v9
	s_wait_alu 0xf1ff
	v_add_co_ci_u32_e64 v36, null, v28, v10, s3
	s_mov_b32 s27, exec_lo
	global_load_b32 v35, v[35:36], off
	v_mov_b32_e32 v36, v33
	s_wait_loadcnt 0x0
	v_cmpx_gt_f32_e32 v35, v33
; %bb.35:                               ;   in Loop: Header=BB11_29 Depth=2
	v_mov_b32_e32 v36, v35
; %bb.36:                               ;   in Loop: Header=BB11_29 Depth=2
	s_wait_alu 0xfffe
	s_or_b32 exec_lo, exec_lo, s27
.LBB11_37:                              ;   in Loop: Header=BB11_29 Depth=2
	s_wait_alu 0xfffe
	s_or_b32 exec_lo, exec_lo, s4
	s_and_saveexec_b32 s4, s16
	s_cbranch_execz .LBB11_41
; %bb.38:                               ;   in Loop: Header=BB11_29 Depth=2
	v_add_co_u32 v37, s3, v23, v9
	s_wait_alu 0xf1ff
	v_add_co_ci_u32_e64 v38, null, v24, v10, s3
	s_mov_b32 s27, exec_lo
	global_load_b32 v34, v[37:38], off
	s_wait_loadcnt 0x0
	v_cmpx_gt_f32_e32 v34, v36
; %bb.39:                               ;   in Loop: Header=BB11_29 Depth=2
	v_mov_b32_e32 v36, v34
; %bb.40:                               ;   in Loop: Header=BB11_29 Depth=2
	s_wait_alu 0xfffe
	s_or_b32 exec_lo, exec_lo, s27
.LBB11_41:                              ;   in Loop: Header=BB11_29 Depth=2
	s_wait_alu 0xfffe
	s_or_b32 exec_lo, exec_lo, s4
	global_load_b32 v37, v[21:22], off
	v_cmp_neq_f32_e64 s3, 0xff800000, v36
	s_or_b32 s25, s25, exec_lo
	v_cndmask_b32_e64 v36, 0, v36, s3
	s_delay_alu instid0(VALU_DEP_1) | instskip(NEXT) | instid1(VALU_DEP_1)
	v_sub_f32_e32 v34, v34, v36
	v_dual_sub_f32 v33, v33, v36 :: v_dual_mul_f32 v44, 0x3fb8aa3b, v34
	s_delay_alu instid0(VALU_DEP_1) | instskip(SKIP_1) | instid1(VALU_DEP_3)
	v_dual_sub_f32 v35, v35, v36 :: v_dual_mul_f32 v38, 0x3fb8aa3b, v33
	v_cmp_ngt_f32_e64 s3, 0xc2ce8ed0, v33
	v_rndne_f32_e32 v46, v44
	s_delay_alu instid0(VALU_DEP_3) | instskip(NEXT) | instid1(VALU_DEP_4)
	v_rndne_f32_e32 v41, v38
	v_mul_f32_e32 v39, 0x3fb8aa3b, v35
	v_fma_f32 v40, 0x3fb8aa3b, v33, -v38
	s_delay_alu instid0(VALU_DEP_3) | instskip(NEXT) | instid1(VALU_DEP_3)
	v_sub_f32_e32 v38, v38, v41
	v_rndne_f32_e32 v43, v39
	v_fma_f32 v42, 0x3fb8aa3b, v35, -v39
	v_cvt_i32_f32_e32 v41, v41
	s_delay_alu instid0(VALU_DEP_3) | instskip(SKIP_1) | instid1(VALU_DEP_1)
	v_sub_f32_e32 v39, v39, v43
	v_fma_f32 v45, 0x3fb8aa3b, v34, -v44
	v_dual_fmac_f32 v42, 0x32a5705f, v35 :: v_dual_fmac_f32 v45, 0x32a5705f, v34
	s_delay_alu instid0(VALU_DEP_1) | instskip(SKIP_1) | instid1(VALU_DEP_2)
	v_dual_fmac_f32 v40, 0x32a5705f, v33 :: v_dual_add_f32 v39, v39, v42
	v_cvt_i32_f32_e32 v42, v43
	v_add_f32_e32 v38, v38, v40
	s_delay_alu instid0(VALU_DEP_3) | instskip(NEXT) | instid1(VALU_DEP_1)
	v_exp_f32_e32 v39, v39
	v_exp_f32_e32 v38, v38
	s_delay_alu instid0(TRANS32_DEP_2) | instskip(NEXT) | instid1(TRANS32_DEP_1)
	v_ldexp_f32 v39, v39, v42
	v_ldexp_f32 v38, v38, v41
	v_cvt_i32_f32_e32 v41, v46
	s_wait_alu 0xf1ff
	s_delay_alu instid0(VALU_DEP_2) | instskip(SKIP_2) | instid1(VALU_DEP_1)
	v_cndmask_b32_e64 v38, 0, v38, s3
	v_cmp_ngt_f32_e64 s3, 0xc2ce8ed0, v35
	s_wait_alu 0xf1ff
	v_cndmask_b32_e64 v39, 0, v39, s3
	v_cmp_nlt_f32_e64 s3, 0x42b17218, v33
	s_wait_alu 0xf1ff
	s_delay_alu instid0(VALU_DEP_1) | instskip(SKIP_2) | instid1(VALU_DEP_1)
	v_cndmask_b32_e64 v33, 0x7f800000, v38, s3
	v_cmp_nlt_f32_e64 s3, 0x42b17218, v35
	s_wait_alu 0xf1ff
	v_cndmask_b32_e64 v35, 0x7f800000, v39, s3
	v_cmp_ngt_f32_e64 s3, 0xc2ce8ed0, v34
	s_delay_alu instid0(VALU_DEP_2) | instskip(NEXT) | instid1(VALU_DEP_1)
	v_dual_add_f32 v33, v33, v35 :: v_dual_sub_f32 v40, v44, v46
	v_add_f32_e32 v40, v40, v45
	s_delay_alu instid0(VALU_DEP_1) | instskip(NEXT) | instid1(TRANS32_DEP_1)
	v_exp_f32_e32 v40, v40
	v_ldexp_f32 v40, v40, v41
	s_wait_alu 0xf1ff
	s_delay_alu instid0(VALU_DEP_1) | instskip(SKIP_2) | instid1(VALU_DEP_1)
	v_cndmask_b32_e64 v38, 0, v40, s3
	v_cmp_nlt_f32_e64 s3, 0x42b17218, v34
	s_wait_alu 0xf1ff
	v_cndmask_b32_e64 v34, 0x7f800000, v38, s3
	s_delay_alu instid0(VALU_DEP_1) | instskip(NEXT) | instid1(VALU_DEP_1)
	v_add_f32_e32 v33, v34, v33
	v_cmp_gt_f32_e64 s3, 0x800000, v33
	s_wait_alu 0xf1ff
	s_delay_alu instid0(VALU_DEP_1) | instskip(NEXT) | instid1(VALU_DEP_1)
	v_cndmask_b32_e64 v34, 0, 32, s3
	v_ldexp_f32 v33, v33, v34
	s_delay_alu instid0(VALU_DEP_1) | instskip(NEXT) | instid1(TRANS32_DEP_1)
	v_log_f32_e32 v33, v33
	v_mul_f32_e32 v34, 0x3f317217, v33
	v_cmp_gt_f32_e64 s4, 0x7f800000, |v33|
	s_delay_alu instid0(VALU_DEP_2) | instskip(NEXT) | instid1(VALU_DEP_1)
	v_fma_f32 v34, 0x3f317217, v33, -v34
	v_fmac_f32_e32 v34, 0x3377d1cf, v33
	s_delay_alu instid0(VALU_DEP_1) | instskip(SKIP_1) | instid1(VALU_DEP_1)
	v_fmac_f32_e32 v34, 0x3f317217, v33
	s_wait_alu 0xf1ff
	v_cndmask_b32_e64 v33, v33, v34, s4
	v_cndmask_b32_e64 v34, 0, 0x41b17218, s3
	s_delay_alu instid0(VALU_DEP_1) | instskip(NEXT) | instid1(VALU_DEP_1)
	v_sub_f32_e32 v33, v33, v34
	v_add_f32_e32 v33, v36, v33
	s_wait_loadcnt 0x0
	s_delay_alu instid0(VALU_DEP_1)
	v_add_f32_e32 v33, v37, v33
	s_or_b32 exec_lo, exec_lo, s26
	s_wait_alu 0xfffe
	s_and_saveexec_b32 s4, s25
	s_cbranch_execz .LBB11_28
.LBB11_42:                              ;   in Loop: Header=BB11_29 Depth=2
	v_add_co_u32 v34, s3, v29, v9
	s_wait_alu 0xf1ff
	v_add_co_ci_u32_e64 v35, null, v30, v10, s3
	global_store_b32 v[34:35], v33, off
	s_branch .LBB11_28
.LBB11_43:
	s_endpgm
.LBB11_44:
                                        ; implicit-def: $sgpr2_sgpr3
	s_branch .LBB11_4
	.section	.rodata,"a",@progbits
	.p2align	6, 0x0
	.amdhsa_kernel _ZN2at6native12_GLOBAL__N_137ctc_loss_backward_log_beta_gpu_kernelIflEEvPT_PKS3_PKllPKT0_S8_lllllllS8_lll
		.amdhsa_group_segment_fixed_size 0
		.amdhsa_private_segment_fixed_size 0
		.amdhsa_kernarg_size 392
		.amdhsa_user_sgpr_count 2
		.amdhsa_user_sgpr_dispatch_ptr 0
		.amdhsa_user_sgpr_queue_ptr 0
		.amdhsa_user_sgpr_kernarg_segment_ptr 1
		.amdhsa_user_sgpr_dispatch_id 0
		.amdhsa_user_sgpr_private_segment_size 0
		.amdhsa_wavefront_size32 1
		.amdhsa_uses_dynamic_stack 0
		.amdhsa_enable_private_segment 0
		.amdhsa_system_sgpr_workgroup_id_x 1
		.amdhsa_system_sgpr_workgroup_id_y 1
		.amdhsa_system_sgpr_workgroup_id_z 0
		.amdhsa_system_sgpr_workgroup_info 0
		.amdhsa_system_vgpr_workitem_id 1
		.amdhsa_next_free_vgpr 47
		.amdhsa_next_free_sgpr 36
		.amdhsa_reserve_vcc 1
		.amdhsa_float_round_mode_32 0
		.amdhsa_float_round_mode_16_64 0
		.amdhsa_float_denorm_mode_32 3
		.amdhsa_float_denorm_mode_16_64 3
		.amdhsa_fp16_overflow 0
		.amdhsa_workgroup_processor_mode 1
		.amdhsa_memory_ordered 1
		.amdhsa_forward_progress 1
		.amdhsa_inst_pref_size 32
		.amdhsa_round_robin_scheduling 0
		.amdhsa_exception_fp_ieee_invalid_op 0
		.amdhsa_exception_fp_denorm_src 0
		.amdhsa_exception_fp_ieee_div_zero 0
		.amdhsa_exception_fp_ieee_overflow 0
		.amdhsa_exception_fp_ieee_underflow 0
		.amdhsa_exception_fp_ieee_inexact 0
		.amdhsa_exception_int_div_zero 0
	.end_amdhsa_kernel
	.section	.text._ZN2at6native12_GLOBAL__N_137ctc_loss_backward_log_beta_gpu_kernelIflEEvPT_PKS3_PKllPKT0_S8_lllllllS8_lll,"axG",@progbits,_ZN2at6native12_GLOBAL__N_137ctc_loss_backward_log_beta_gpu_kernelIflEEvPT_PKS3_PKllPKT0_S8_lllllllS8_lll,comdat
.Lfunc_end11:
	.size	_ZN2at6native12_GLOBAL__N_137ctc_loss_backward_log_beta_gpu_kernelIflEEvPT_PKS3_PKllPKT0_S8_lllllllS8_lll, .Lfunc_end11-_ZN2at6native12_GLOBAL__N_137ctc_loss_backward_log_beta_gpu_kernelIflEEvPT_PKS3_PKllPKT0_S8_lllllllS8_lll
                                        ; -- End function
	.set _ZN2at6native12_GLOBAL__N_137ctc_loss_backward_log_beta_gpu_kernelIflEEvPT_PKS3_PKllPKT0_S8_lllllllS8_lll.num_vgpr, 47
	.set _ZN2at6native12_GLOBAL__N_137ctc_loss_backward_log_beta_gpu_kernelIflEEvPT_PKS3_PKllPKT0_S8_lllllllS8_lll.num_agpr, 0
	.set _ZN2at6native12_GLOBAL__N_137ctc_loss_backward_log_beta_gpu_kernelIflEEvPT_PKS3_PKllPKT0_S8_lllllllS8_lll.numbered_sgpr, 36
	.set _ZN2at6native12_GLOBAL__N_137ctc_loss_backward_log_beta_gpu_kernelIflEEvPT_PKS3_PKllPKT0_S8_lllllllS8_lll.num_named_barrier, 0
	.set _ZN2at6native12_GLOBAL__N_137ctc_loss_backward_log_beta_gpu_kernelIflEEvPT_PKS3_PKllPKT0_S8_lllllllS8_lll.private_seg_size, 0
	.set _ZN2at6native12_GLOBAL__N_137ctc_loss_backward_log_beta_gpu_kernelIflEEvPT_PKS3_PKllPKT0_S8_lllllllS8_lll.uses_vcc, 1
	.set _ZN2at6native12_GLOBAL__N_137ctc_loss_backward_log_beta_gpu_kernelIflEEvPT_PKS3_PKllPKT0_S8_lllllllS8_lll.uses_flat_scratch, 0
	.set _ZN2at6native12_GLOBAL__N_137ctc_loss_backward_log_beta_gpu_kernelIflEEvPT_PKS3_PKllPKT0_S8_lllllllS8_lll.has_dyn_sized_stack, 0
	.set _ZN2at6native12_GLOBAL__N_137ctc_loss_backward_log_beta_gpu_kernelIflEEvPT_PKS3_PKllPKT0_S8_lllllllS8_lll.has_recursion, 0
	.set _ZN2at6native12_GLOBAL__N_137ctc_loss_backward_log_beta_gpu_kernelIflEEvPT_PKS3_PKllPKT0_S8_lllllllS8_lll.has_indirect_call, 0
	.section	.AMDGPU.csdata,"",@progbits
; Kernel info:
; codeLenInByte = 4040
; TotalNumSgprs: 38
; NumVgprs: 47
; ScratchSize: 0
; MemoryBound: 0
; FloatMode: 240
; IeeeMode: 1
; LDSByteSize: 0 bytes/workgroup (compile time only)
; SGPRBlocks: 0
; VGPRBlocks: 5
; NumSGPRsForWavesPerEU: 38
; NumVGPRsForWavesPerEU: 47
; Occupancy: 16
; WaveLimiterHint : 1
; COMPUTE_PGM_RSRC2:SCRATCH_EN: 0
; COMPUTE_PGM_RSRC2:USER_SGPR: 2
; COMPUTE_PGM_RSRC2:TRAP_HANDLER: 0
; COMPUTE_PGM_RSRC2:TGID_X_EN: 1
; COMPUTE_PGM_RSRC2:TGID_Y_EN: 1
; COMPUTE_PGM_RSRC2:TGID_Z_EN: 0
; COMPUTE_PGM_RSRC2:TIDIG_COMP_CNT: 1
	.section	.text._ZN2at6native12_GLOBAL__N_145ctc_loss_backward_collect_nonblank_gpu_kernelIflEEvPT_PKS3_lS6_S6_S6_PKlPKT0_S8_S6_llllllllllllS8_llb,"axG",@progbits,_ZN2at6native12_GLOBAL__N_145ctc_loss_backward_collect_nonblank_gpu_kernelIflEEvPT_PKS3_lS6_S6_S6_PKlPKT0_S8_S6_llllllllllllS8_llb,comdat
	.globl	_ZN2at6native12_GLOBAL__N_145ctc_loss_backward_collect_nonblank_gpu_kernelIflEEvPT_PKS3_lS6_S6_S6_PKlPKT0_S8_S6_llllllllllllS8_llb ; -- Begin function _ZN2at6native12_GLOBAL__N_145ctc_loss_backward_collect_nonblank_gpu_kernelIflEEvPT_PKS3_lS6_S6_S6_PKlPKT0_S8_S6_llllllllllllS8_llb
	.p2align	8
	.type	_ZN2at6native12_GLOBAL__N_145ctc_loss_backward_collect_nonblank_gpu_kernelIflEEvPT_PKS3_lS6_S6_S6_PKlPKT0_S8_S6_llllllllllllS8_llb,@function
_ZN2at6native12_GLOBAL__N_145ctc_loss_backward_collect_nonblank_gpu_kernelIflEEvPT_PKS3_lS6_S6_S6_PKlPKT0_S8_S6_llllllllllllS8_llb: ; @_ZN2at6native12_GLOBAL__N_145ctc_loss_backward_collect_nonblank_gpu_kernelIflEEvPT_PKS3_lS6_S6_S6_PKlPKT0_S8_S6_llllllllllllS8_llb
; %bb.0:
	s_clause 0x1
	s_load_b32 s2, s[0:1], 0xdc
	s_load_b128 s[4:7], s[0:1], 0xb8
	v_bfe_u32 v1, v0, 10, 10
	s_wait_kmcnt 0x0
	s_lshr_b32 s3, s2, 16
	s_delay_alu instid0(VALU_DEP_1) | instid1(SALU_CYCLE_1)
	v_mad_co_u64_u32 v[2:3], null, ttmp7, s3, v[1:2]
	v_mov_b32_e32 v3, 0
	s_mov_b32 s3, exec_lo
	s_delay_alu instid0(VALU_DEP_1)
	v_cmpx_gt_i64_e64 s[6:7], v[2:3]
	s_cbranch_execz .LBB12_5
; %bb.1:
	s_load_b64 s[6:7], s[0:1], 0x40
	v_lshlrev_b64_e32 v[6:7], 3, v[2:3]
	v_dual_mov_b32 v1, v3 :: v_dual_and_b32 v0, 0x3ff, v0
	s_and_b32 s2, s2, 0xffff
	s_wait_kmcnt 0x0
	s_delay_alu instid0(VALU_DEP_2) | instskip(NEXT) | instid1(VALU_DEP_1)
	v_add_co_u32 v4, vcc_lo, s6, v6
	v_add_co_ci_u32_e64 v5, null, s7, v7, vcc_lo
	global_load_b64 v[8:9], v[4:5], off
	s_wait_alu 0xfffe
	v_mad_co_u64_u32 v[4:5], null, s2, ttmp9, v[0:1]
	s_wait_loadcnt 0x0
	s_delay_alu instid0(VALU_DEP_1)
	v_cmp_lt_i64_e32 vcc_lo, v[4:5], v[8:9]
	s_and_b32 exec_lo, exec_lo, vcc_lo
	s_cbranch_execz .LBB12_5
; %bb.2:
	s_clause 0x2
	s_load_b64 s[2:3], s[0:1], 0x48
	s_load_b32 s8, s[0:1], 0xc8
	s_load_b64 s[6:7], s[0:1], 0x30
	v_lshlrev_b64_e32 v[0:1], 2, v[2:3]
	s_wait_kmcnt 0x0
	s_delay_alu instid0(VALU_DEP_1) | instskip(SKIP_1) | instid1(VALU_DEP_2)
	v_add_co_u32 v0, vcc_lo, s2, v0
	s_wait_alu 0xfffd
	v_add_co_ci_u32_e64 v1, null, s3, v1, vcc_lo
	v_add_co_u32 v8, vcc_lo, s6, v6
	s_wait_alu 0xfffd
	v_add_co_ci_u32_e64 v9, null, s7, v7, vcc_lo
	global_load_b32 v10, v[0:1], off
	global_load_b64 v[0:1], v[8:9], off
	s_bitcmp1_b32 s8, 0
	s_cselect_b32 s3, -1, 0
	s_wait_alu 0xfffe
	s_xor_b32 s3, s3, -1
	s_wait_loadcnt 0x1
	v_cmp_neq_f32_e32 vcc_lo, 0x7f800000, v10
	s_wait_loadcnt 0x0
	v_cmp_lt_i64_e64 s2, 0, v[0:1]
	s_wait_alu 0xfffe
	s_or_b32 s3, s3, vcc_lo
	s_wait_alu 0xfffe
	s_and_b32 s2, s3, s2
	s_wait_alu 0xfffe
	s_and_b32 exec_lo, exec_lo, s2
	s_cbranch_execz .LBB12_5
; %bb.3:
	s_load_b64 s[2:3], s[0:1], 0xb0
	v_mul_lo_u32 v3, v5, s4
	v_mul_lo_u32 v11, v4, s5
	v_mad_co_u64_u32 v[8:9], null, v4, s4, 0
	s_load_b256 s[20:27], s[0:1], 0x0
	v_add3_u32 v9, v9, v11, v3
	s_delay_alu instid0(VALU_DEP_1)
	v_lshlrev_b64_e32 v[8:9], 3, v[8:9]
	s_wait_kmcnt 0x0
	v_add_co_u32 v6, vcc_lo, s2, v6
	s_wait_alu 0xfffd
	v_add_co_ci_u32_e64 v7, null, s3, v7, vcc_lo
	s_load_b64 s[2:3], s[0:1], 0x38
	global_load_b64 v[6:7], v[6:7], off
	s_wait_loadcnt 0x0
	v_lshlrev_b64_e32 v[6:7], 3, v[6:7]
	s_wait_kmcnt 0x0
	s_delay_alu instid0(VALU_DEP_1) | instskip(SKIP_1) | instid1(VALU_DEP_2)
	v_add_co_u32 v3, vcc_lo, s2, v6
	s_wait_alu 0xfffd
	v_add_co_ci_u32_e64 v7, null, s3, v7, vcc_lo
	s_delay_alu instid0(VALU_DEP_2) | instskip(SKIP_1) | instid1(VALU_DEP_2)
	v_add_co_u32 v6, vcc_lo, v3, v8
	s_wait_alu 0xfffd
	v_add_co_ci_u32_e64 v7, null, v7, v9, vcc_lo
	v_mad_co_u64_u32 v[8:9], null, s24, v2, 0
	global_load_b64 v[6:7], v[6:7], off
	v_mov_b32_e32 v3, v9
	s_delay_alu instid0(VALU_DEP_1) | instskip(SKIP_1) | instid1(VALU_DEP_1)
	v_mad_co_u64_u32 v[11:12], null, s25, v2, v[3:4]
	v_lshlrev_b64_e32 v[3:4], 1, v[4:5]
	v_or_b32_e32 v3, 1, v3
	s_delay_alu instid0(VALU_DEP_3) | instskip(NEXT) | instid1(VALU_DEP_1)
	v_mov_b32_e32 v9, v11
	v_lshlrev_b64_e32 v[8:9], 2, v[8:9]
	s_delay_alu instid0(VALU_DEP_1) | instskip(SKIP_1) | instid1(VALU_DEP_2)
	v_add_co_u32 v8, vcc_lo, s22, v8
	s_wait_alu 0xfffd
	v_add_co_ci_u32_e64 v9, null, s23, v9, vcc_lo
	global_load_b32 v11, v[8:9], off
	s_clause 0x2
	s_load_b512 s[4:19], s[0:1], 0x50
	s_load_b256 s[36:43], s[0:1], 0x90
	s_load_b128 s[0:3], s[0:1], 0x20
	s_wait_kmcnt 0x0
	v_mad_co_u64_u32 v[8:9], null, s6, v2, 0
	v_mad_co_u64_u32 v[12:13], null, s12, v2, 0
	;; [unrolled: 1-line block ×3, first 2 shown]
	v_mul_lo_u32 v20, v4, s36
	v_mul_lo_u32 v21, v3, s37
	v_mad_co_u64_u32 v[18:19], null, v3, s36, 0
	v_mad_co_u64_u32 v[16:17], null, s38, v2, 0
	v_mov_b32_e32 v5, v9
	v_mov_b32_e32 v9, v13
	;; [unrolled: 1-line block ×3, first 2 shown]
	v_mul_lo_u32 v25, v4, s42
	v_add3_u32 v19, v19, v21, v20
	v_mul_lo_u32 v26, v3, s43
	v_mov_b32_e32 v15, v17
	v_mad_co_u64_u32 v[3:4], null, v3, s42, 0
	s_delay_alu instid0(VALU_DEP_4) | instskip(SKIP_1) | instid1(VALU_DEP_2)
	v_lshlrev_b64_e32 v[18:19], 2, v[18:19]
	s_lshl_b64 s[4:5], s[4:5], 2
	v_add3_u32 v4, v4, v26, v25
	s_wait_loadcnt 0x1
	v_mad_co_u64_u32 v[20:21], null, s7, v2, v[5:6]
	v_mad_co_u64_u32 v[21:22], null, s13, v2, v[9:10]
	;; [unrolled: 1-line block ×4, first 2 shown]
	s_delay_alu instid0(VALU_DEP_4)
	v_mov_b32_e32 v9, v20
	v_lshlrev_b64_e32 v[4:5], 2, v[3:4]
	v_mov_b32_e32 v13, v21
	s_lshl_b64 s[6:7], s[40:41], 2
	v_mov_b32_e32 v15, v22
	v_lshlrev_b64_e32 v[2:3], 2, v[8:9]
	v_mov_b32_e32 v17, v23
	v_lshlrev_b64_e32 v[12:13], 2, v[12:13]
	v_mul_lo_u32 v22, v7, s8
	v_lshlrev_b64_e32 v[8:9], 2, v[14:15]
	v_mul_lo_u32 v23, v6, s9
	v_lshlrev_b64_e32 v[14:15], 2, v[16:17]
	v_add_co_u32 v16, vcc_lo, s2, v12
	s_wait_alu 0xfffd
	v_add_co_ci_u32_e64 v17, null, s3, v13, vcc_lo
	v_add_co_u32 v20, vcc_lo, s20, v2
	s_wait_alu 0xfffd
	v_add_co_ci_u32_e64 v21, null, s21, v3, vcc_lo
	;; [unrolled: 3-line block ×3, first 2 shown]
	v_mul_lo_u32 v12, v7, s14
	v_mul_lo_u32 v13, v6, s15
	v_mad_co_u64_u32 v[8:9], null, v6, s14, 0
	v_mad_co_u64_u32 v[6:7], null, v6, s8, 0
	v_add_co_u32 v14, vcc_lo, s0, v14
	s_wait_alu 0xfffd
	v_add_co_ci_u32_e64 v15, null, s1, v15, vcc_lo
	s_delay_alu instid0(VALU_DEP_4)
	v_add3_u32 v9, v9, v13, v12
	v_add_co_u32 v2, vcc_lo, v2, v18
	v_add3_u32 v7, v7, v23, v22
	s_wait_alu 0xfffd
	v_add_co_ci_u32_e64 v3, null, v3, v19, vcc_lo
	v_lshlrev_b64_e32 v[8:9], 2, v[8:9]
	v_add_co_u32 v4, vcc_lo, v14, v4
	v_lshlrev_b64_e32 v[12:13], 2, v[6:7]
	s_wait_alu 0xfffd
	v_add_co_ci_u32_e64 v5, null, v15, v5, vcc_lo
	s_delay_alu instid0(VALU_DEP_4)
	v_add_co_u32 v6, vcc_lo, v16, v8
	s_wait_alu 0xfffd
	v_add_co_ci_u32_e64 v7, null, v17, v9, vcc_lo
	v_add_co_u32 v8, vcc_lo, v20, v12
	s_wait_alu 0xfffd
	v_add_co_ci_u32_e64 v9, null, v21, v13, vcc_lo
	s_lshl_b64 s[2:3], s[18:19], 2
	s_lshl_b64 s[8:9], s[10:11], 2
	s_mov_b32 s1, 0
.LBB12_4:                               ; =>This Inner Loop Header: Depth=1
	global_load_b32 v12, v[2:3], off
	global_load_b32 v13, v[4:5], off
	;; [unrolled: 1-line block ×3, first 2 shown]
	s_wait_loadcnt 0x1
	v_add_f32_e32 v12, v12, v13
	s_delay_alu instid0(VALU_DEP_1) | instskip(SKIP_1) | instid1(VALU_DEP_1)
	v_add_f32_e32 v12, v10, v12
	s_wait_loadcnt 0x0
	v_sub_f32_e32 v12, v12, v14
	s_delay_alu instid0(VALU_DEP_1) | instskip(SKIP_1) | instid1(VALU_DEP_2)
	v_mul_f32_e32 v13, 0x3fb8aa3b, v12
	v_cmp_ngt_f32_e32 vcc_lo, 0xc2ce8ed0, v12
	v_fma_f32 v14, 0x3fb8aa3b, v12, -v13
	v_rndne_f32_e32 v15, v13
	s_delay_alu instid0(VALU_DEP_1) | instskip(NEXT) | instid1(VALU_DEP_1)
	v_dual_fmac_f32 v14, 0x32a5705f, v12 :: v_dual_sub_f32 v13, v13, v15
	v_add_f32_e32 v13, v13, v14
	v_cvt_i32_f32_e32 v14, v15
	s_delay_alu instid0(VALU_DEP_2) | instskip(NEXT) | instid1(TRANS32_DEP_1)
	v_exp_f32_e32 v13, v13
	v_ldexp_f32 v13, v13, v14
	s_wait_alu 0xfffd
	s_delay_alu instid0(VALU_DEP_1) | instskip(SKIP_2) | instid1(VALU_DEP_2)
	v_cndmask_b32_e32 v13, 0, v13, vcc_lo
	v_cmp_nlt_f32_e32 vcc_lo, 0x42b17218, v12
	s_wait_alu 0xfffd
	v_cndmask_b32_e32 v12, 0x7f800000, v13, vcc_lo
	v_add_co_u32 v0, vcc_lo, v0, -1
	s_wait_alu 0xfffd
	v_add_co_ci_u32_e64 v1, null, -1, v1, vcc_lo
	s_delay_alu instid0(VALU_DEP_3)
	v_mul_f32_e64 v12, v11, -v12
	s_wait_alu 0xfffe
	v_add_co_u32 v4, vcc_lo, v4, s6
	s_wait_alu 0xfffd
	v_add_co_ci_u32_e64 v5, null, s7, v5, vcc_lo
	global_atomic_add_f32 v[8:9], v12, off scope:SCOPE_DEV
	v_add_co_u32 v2, vcc_lo, v2, s2
	s_wait_alu 0xfffd
	v_add_co_ci_u32_e64 v3, null, s3, v3, vcc_lo
	v_add_co_u32 v6, vcc_lo, v6, s8
	s_wait_alu 0xfffd
	v_add_co_ci_u32_e64 v7, null, s9, v7, vcc_lo
	v_cmp_eq_u64_e32 vcc_lo, 0, v[0:1]
	v_add_co_u32 v8, s0, v8, s4
	s_wait_alu 0xf1ff
	v_add_co_ci_u32_e64 v9, null, s5, v9, s0
	s_or_b32 s1, vcc_lo, s1
	s_wait_alu 0xfffe
	s_and_not1_b32 exec_lo, exec_lo, s1
	s_cbranch_execnz .LBB12_4
.LBB12_5:
	s_endpgm
	.section	.rodata,"a",@progbits
	.p2align	6, 0x0
	.amdhsa_kernel _ZN2at6native12_GLOBAL__N_145ctc_loss_backward_collect_nonblank_gpu_kernelIflEEvPT_PKS3_lS6_S6_S6_PKlPKT0_S8_S6_llllllllllllS8_llb
		.amdhsa_group_segment_fixed_size 0
		.amdhsa_private_segment_fixed_size 0
		.amdhsa_kernarg_size 464
		.amdhsa_user_sgpr_count 2
		.amdhsa_user_sgpr_dispatch_ptr 0
		.amdhsa_user_sgpr_queue_ptr 0
		.amdhsa_user_sgpr_kernarg_segment_ptr 1
		.amdhsa_user_sgpr_dispatch_id 0
		.amdhsa_user_sgpr_private_segment_size 0
		.amdhsa_wavefront_size32 1
		.amdhsa_uses_dynamic_stack 0
		.amdhsa_enable_private_segment 0
		.amdhsa_system_sgpr_workgroup_id_x 1
		.amdhsa_system_sgpr_workgroup_id_y 1
		.amdhsa_system_sgpr_workgroup_id_z 0
		.amdhsa_system_sgpr_workgroup_info 0
		.amdhsa_system_vgpr_workitem_id 1
		.amdhsa_next_free_vgpr 27
		.amdhsa_next_free_sgpr 44
		.amdhsa_reserve_vcc 1
		.amdhsa_float_round_mode_32 0
		.amdhsa_float_round_mode_16_64 0
		.amdhsa_float_denorm_mode_32 3
		.amdhsa_float_denorm_mode_16_64 3
		.amdhsa_fp16_overflow 0
		.amdhsa_workgroup_processor_mode 1
		.amdhsa_memory_ordered 1
		.amdhsa_forward_progress 1
		.amdhsa_inst_pref_size 11
		.amdhsa_round_robin_scheduling 0
		.amdhsa_exception_fp_ieee_invalid_op 0
		.amdhsa_exception_fp_denorm_src 0
		.amdhsa_exception_fp_ieee_div_zero 0
		.amdhsa_exception_fp_ieee_overflow 0
		.amdhsa_exception_fp_ieee_underflow 0
		.amdhsa_exception_fp_ieee_inexact 0
		.amdhsa_exception_int_div_zero 0
	.end_amdhsa_kernel
	.section	.text._ZN2at6native12_GLOBAL__N_145ctc_loss_backward_collect_nonblank_gpu_kernelIflEEvPT_PKS3_lS6_S6_S6_PKlPKT0_S8_S6_llllllllllllS8_llb,"axG",@progbits,_ZN2at6native12_GLOBAL__N_145ctc_loss_backward_collect_nonblank_gpu_kernelIflEEvPT_PKS3_lS6_S6_S6_PKlPKT0_S8_S6_llllllllllllS8_llb,comdat
.Lfunc_end12:
	.size	_ZN2at6native12_GLOBAL__N_145ctc_loss_backward_collect_nonblank_gpu_kernelIflEEvPT_PKS3_lS6_S6_S6_PKlPKT0_S8_S6_llllllllllllS8_llb, .Lfunc_end12-_ZN2at6native12_GLOBAL__N_145ctc_loss_backward_collect_nonblank_gpu_kernelIflEEvPT_PKS3_lS6_S6_S6_PKlPKT0_S8_S6_llllllllllllS8_llb
                                        ; -- End function
	.set _ZN2at6native12_GLOBAL__N_145ctc_loss_backward_collect_nonblank_gpu_kernelIflEEvPT_PKS3_lS6_S6_S6_PKlPKT0_S8_S6_llllllllllllS8_llb.num_vgpr, 27
	.set _ZN2at6native12_GLOBAL__N_145ctc_loss_backward_collect_nonblank_gpu_kernelIflEEvPT_PKS3_lS6_S6_S6_PKlPKT0_S8_S6_llllllllllllS8_llb.num_agpr, 0
	.set _ZN2at6native12_GLOBAL__N_145ctc_loss_backward_collect_nonblank_gpu_kernelIflEEvPT_PKS3_lS6_S6_S6_PKlPKT0_S8_S6_llllllllllllS8_llb.numbered_sgpr, 44
	.set _ZN2at6native12_GLOBAL__N_145ctc_loss_backward_collect_nonblank_gpu_kernelIflEEvPT_PKS3_lS6_S6_S6_PKlPKT0_S8_S6_llllllllllllS8_llb.num_named_barrier, 0
	.set _ZN2at6native12_GLOBAL__N_145ctc_loss_backward_collect_nonblank_gpu_kernelIflEEvPT_PKS3_lS6_S6_S6_PKlPKT0_S8_S6_llllllllllllS8_llb.private_seg_size, 0
	.set _ZN2at6native12_GLOBAL__N_145ctc_loss_backward_collect_nonblank_gpu_kernelIflEEvPT_PKS3_lS6_S6_S6_PKlPKT0_S8_S6_llllllllllllS8_llb.uses_vcc, 1
	.set _ZN2at6native12_GLOBAL__N_145ctc_loss_backward_collect_nonblank_gpu_kernelIflEEvPT_PKS3_lS6_S6_S6_PKlPKT0_S8_S6_llllllllllllS8_llb.uses_flat_scratch, 0
	.set _ZN2at6native12_GLOBAL__N_145ctc_loss_backward_collect_nonblank_gpu_kernelIflEEvPT_PKS3_lS6_S6_S6_PKlPKT0_S8_S6_llllllllllllS8_llb.has_dyn_sized_stack, 0
	.set _ZN2at6native12_GLOBAL__N_145ctc_loss_backward_collect_nonblank_gpu_kernelIflEEvPT_PKS3_lS6_S6_S6_PKlPKT0_S8_S6_llllllllllllS8_llb.has_recursion, 0
	.set _ZN2at6native12_GLOBAL__N_145ctc_loss_backward_collect_nonblank_gpu_kernelIflEEvPT_PKS3_lS6_S6_S6_PKlPKT0_S8_S6_llllllllllllS8_llb.has_indirect_call, 0
	.section	.AMDGPU.csdata,"",@progbits
; Kernel info:
; codeLenInByte = 1404
; TotalNumSgprs: 46
; NumVgprs: 27
; ScratchSize: 0
; MemoryBound: 0
; FloatMode: 240
; IeeeMode: 1
; LDSByteSize: 0 bytes/workgroup (compile time only)
; SGPRBlocks: 0
; VGPRBlocks: 3
; NumSGPRsForWavesPerEU: 46
; NumVGPRsForWavesPerEU: 27
; Occupancy: 16
; WaveLimiterHint : 1
; COMPUTE_PGM_RSRC2:SCRATCH_EN: 0
; COMPUTE_PGM_RSRC2:USER_SGPR: 2
; COMPUTE_PGM_RSRC2:TRAP_HANDLER: 0
; COMPUTE_PGM_RSRC2:TGID_X_EN: 1
; COMPUTE_PGM_RSRC2:TGID_Y_EN: 1
; COMPUTE_PGM_RSRC2:TGID_Z_EN: 0
; COMPUTE_PGM_RSRC2:TIDIG_COMP_CNT: 1
	.section	.text._ZN2at6native12_GLOBAL__N_136ctc_loss_backward_collect_gpu_kernelIflEEvPT_PKS3_lS6_S6_S6_PKllPKT0_S8_lS6_llllllllllllS8_llllb,"axG",@progbits,_ZN2at6native12_GLOBAL__N_136ctc_loss_backward_collect_gpu_kernelIflEEvPT_PKS3_lS6_S6_S6_PKllPKT0_S8_lS6_llllllllllllS8_llllb,comdat
	.globl	_ZN2at6native12_GLOBAL__N_136ctc_loss_backward_collect_gpu_kernelIflEEvPT_PKS3_lS6_S6_S6_PKllPKT0_S8_lS6_llllllllllllS8_llllb ; -- Begin function _ZN2at6native12_GLOBAL__N_136ctc_loss_backward_collect_gpu_kernelIflEEvPT_PKS3_lS6_S6_S6_PKllPKT0_S8_lS6_llllllllllllS8_llllb
	.p2align	8
	.type	_ZN2at6native12_GLOBAL__N_136ctc_loss_backward_collect_gpu_kernelIflEEvPT_PKS3_lS6_S6_S6_PKllPKT0_S8_lS6_llllllllllllS8_llllb,@function
_ZN2at6native12_GLOBAL__N_136ctc_loss_backward_collect_gpu_kernelIflEEvPT_PKS3_lS6_S6_S6_PKllPKT0_S8_lS6_llllllllllllS8_llllb: ; @_ZN2at6native12_GLOBAL__N_136ctc_loss_backward_collect_gpu_kernelIflEEvPT_PKS3_lS6_S6_S6_PKllPKT0_S8_lS6_llllllllllllS8_llllb
; %bb.0:
	s_load_b32 s4, s[0:1], 0xfc
	v_bfe_u32 v1, v0, 10, 10
	s_clause 0x1
	s_load_b64 s[2:3], s[0:1], 0x38
	s_load_b256 s[20:27], s[0:1], 0xc8
	v_and_b32_e32 v0, 0x3ff, v0
	s_wait_kmcnt 0x0
	s_lshr_b32 s5, s4, 16
	s_and_b32 s4, s4, 0xffff
	v_mad_co_u64_u32 v[4:5], null, ttmp7, s5, v[1:2]
	v_mov_b32_e32 v5, 0
	s_delay_alu instid0(VALU_DEP_1) | instskip(NEXT) | instid1(VALU_DEP_1)
	v_mov_b32_e32 v1, v5
	v_mad_co_u64_u32 v[0:1], null, s4, ttmp9, v[0:1]
	s_delay_alu instid0(VALU_DEP_1)
	v_cmp_gt_i64_e32 vcc_lo, s[2:3], v[0:1]
	v_cmp_gt_i64_e64 s2, s[22:23], v[4:5]
	s_and_b32 s2, vcc_lo, s2
	s_wait_alu 0xfffe
	s_and_saveexec_b32 s3, s2
	s_cbranch_execz .LBB13_15
; %bb.1:
	s_clause 0x2
	s_load_b64 s[4:5], s[0:1], 0x30
	s_load_b64 s[2:3], s[0:1], 0x50
	;; [unrolled: 1-line block ×3, first 2 shown]
	v_lshlrev_b64_e32 v[8:9], 3, v[4:5]
	s_wait_kmcnt 0x0
	s_delay_alu instid0(VALU_DEP_1) | instskip(NEXT) | instid1(VALU_DEP_1)
	v_add_co_u32 v2, vcc_lo, s4, v8
	v_add_co_ci_u32_e64 v3, null, s5, v9, vcc_lo
	s_load_b512 s[4:19], s[0:1], 0x60
	global_load_b64 v[2:3], v[2:3], off
	s_wait_kmcnt 0x0
	v_mad_co_u64_u32 v[6:7], null, s6, v4, 0
	v_cmp_lt_i64_e64 s6, s[2:3], 0
	v_mul_lo_u32 v16, v1, s4
	v_mul_lo_u32 v17, v0, s5
	s_and_b32 vcc_lo, exec_lo, s6
	v_mad_co_u64_u32 v[10:11], null, s7, v4, v[7:8]
	s_mov_b64 s[6:7], 0
	v_mov_b32_e32 v7, v10
	s_delay_alu instid0(VALU_DEP_1)
	v_lshlrev_b64_e32 v[6:7], 2, v[6:7]
	s_wait_alu 0xfffe
	s_cbranch_vccnz .LBB13_10
; %bb.2:
	s_clause 0x3
	s_load_b64 s[34:35], s[0:1], 0xc0
	s_load_b128 s[28:31], s[0:1], 0x40
	s_load_b128 s[44:47], s[0:1], 0x18
	s_load_b256 s[36:43], s[0:1], 0xa0
	v_mul_lo_u32 v24, v1, s18
	v_mul_lo_u32 v25, v0, s19
	v_mad_co_u64_u32 v[14:15], null, v0, s18, 0
	v_mad_co_u64_u32 v[18:19], null, v0, s4, 0
	s_lshl_b64 s[18:19], s[2:3], 1
	s_mov_b32 s3, 0
	v_add3_u32 v15, v15, v25, v24
	v_add3_u32 v19, v19, v17, v16
	s_delay_alu instid0(VALU_DEP_2)
	v_lshlrev_b64_e32 v[14:15], 2, v[14:15]
	s_wait_kmcnt 0x0
	v_add_co_u32 v10, vcc_lo, s34, v8
	s_wait_alu 0xfffd
	v_add_co_ci_u32_e64 v11, null, s35, v9, vcc_lo
	v_add_co_u32 v8, vcc_lo, s30, v8
	s_wait_alu 0xfffd
	v_add_co_ci_u32_e64 v9, null, s31, v9, vcc_lo
	global_load_b64 v[10:11], v[10:11], off
	global_load_b64 v[12:13], v[8:9], off
	v_mad_co_u64_u32 v[8:9], null, s16, v4, 0
	v_mad_co_u64_u32 v[20:21], null, s38, v4, 0
	v_mul_lo_u32 v27, v1, s40
	v_mul_lo_u32 v28, v0, s41
	v_lshlrev_b64_e32 v[25:26], 2, v[18:19]
	s_wait_loadcnt 0x1
	v_mad_co_u64_u32 v[22:23], null, s17, v4, v[9:10]
	v_mad_co_u64_u32 v[23:24], null, v0, s40, 0
	s_wait_loadcnt 0x0
	v_lshlrev_b64_e32 v[12:13], 1, v[12:13]
	s_lshl_b64 s[16:17], s[36:37], 2
	s_delay_alu instid0(VALU_DEP_3) | instskip(SKIP_2) | instid1(VALU_DEP_3)
	v_mov_b32_e32 v9, v22
	v_mad_co_u64_u32 v[21:22], null, s39, v4, v[21:22]
	v_add_co_u32 v22, vcc_lo, s22, v6
	v_lshlrev_b64_e32 v[8:9], 2, v[8:9]
	s_wait_alu 0xfffd
	v_add_co_ci_u32_e64 v29, null, s23, v7, vcc_lo
	v_add3_u32 v24, v24, v28, v27
	v_lshlrev_b64_e32 v[20:21], 2, v[20:21]
	s_delay_alu instid0(VALU_DEP_4) | instskip(SKIP_3) | instid1(VALU_DEP_3)
	v_add_co_u32 v8, vcc_lo, s44, v8
	s_wait_alu 0xfffd
	v_add_co_ci_u32_e64 v9, null, s45, v9, vcc_lo
	v_lshlrev_b64_e32 v[18:19], 2, v[23:24]
	v_add_co_u32 v8, vcc_lo, v8, v14
	s_wait_alu 0xfffd
	s_delay_alu instid0(VALU_DEP_3) | instskip(SKIP_4) | instid1(VALU_DEP_3)
	v_add_co_ci_u32_e64 v9, null, v9, v15, vcc_lo
	v_add_co_u32 v20, vcc_lo, s46, v20
	v_lshlrev_b64_e32 v[14:15], 3, v[10:11]
	s_wait_alu 0xfffd
	v_add_co_ci_u32_e64 v21, null, s47, v21, vcc_lo
	v_add_co_u32 v10, vcc_lo, v20, v18
	s_wait_alu 0xfffd
	s_delay_alu instid0(VALU_DEP_2)
	v_add_co_ci_u32_e64 v11, null, v21, v19, vcc_lo
	v_add_co_u32 v18, vcc_lo, s28, v14
	s_wait_alu 0xfffd
	v_add_co_ci_u32_e64 v19, null, s29, v15, vcc_lo
	v_add_co_u32 v20, vcc_lo, v22, v25
	s_wait_alu 0xfffd
	v_add_co_ci_u32_e64 v21, null, v29, v26, vcc_lo
	s_lshl_b64 s[28:29], s[42:43], 2
	s_branch .LBB13_5
.LBB13_3:                               ;   in Loop: Header=BB13_5 Depth=1
	s_wait_alu 0xfffe
	s_or_b32 exec_lo, exec_lo, s30
	global_store_b32 v[14:15], v22, off
.LBB13_4:                               ;   in Loop: Header=BB13_5 Depth=1
	s_wait_alu 0xfffe
	s_or_b32 exec_lo, exec_lo, s5
	s_add_nc_u64 s[6:7], s[6:7], 1
	v_add_co_u32 v8, vcc_lo, v8, s16
	s_wait_alu 0xfffe
	v_cmp_lt_i64_e64 s2, s[18:19], s[6:7]
	s_wait_alu 0xfffd
	v_add_co_ci_u32_e64 v9, null, s17, v9, vcc_lo
	v_add_co_u32 v10, vcc_lo, v10, s28
	s_wait_alu 0xfffd
	v_add_co_ci_u32_e64 v11, null, s29, v11, vcc_lo
	s_and_b32 vcc_lo, exec_lo, s2
	s_wait_alu 0xfffe
	s_cbranch_vccnz .LBB13_10
.LBB13_5:                               ; =>This Inner Loop Header: Depth=1
	s_mov_b32 s5, exec_lo
	v_cmpx_le_i64_e64 s[6:7], v[12:13]
	s_cbranch_execz .LBB13_4
; %bb.6:                                ;   in Loop: Header=BB13_5 Depth=1
	v_dual_mov_b32 v14, s26 :: v_dual_mov_b32 v15, s27
	s_and_b32 s2, s6, 1
	s_wait_alu 0xfffe
	s_cmp_eq_u64 s[2:3], 0
	s_cbranch_scc1 .LBB13_8
; %bb.7:                                ;   in Loop: Header=BB13_5 Depth=1
	s_lshr_b64 s[30:31], s[6:7], 1
	s_wait_alu 0xfffe
	s_mul_u64 s[30:31], s[20:21], s[30:31]
	s_wait_alu 0xfffe
	s_lshl_b64 s[30:31], s[30:31], 3
	s_wait_alu 0xfffe
	v_add_co_u32 v14, vcc_lo, v18, s30
	s_wait_alu 0xfffd
	v_add_co_ci_u32_e64 v15, null, s31, v19, vcc_lo
	global_load_b64 v[14:15], v[14:15], off
.LBB13_8:                               ;   in Loop: Header=BB13_5 Depth=1
	s_wait_loadcnt 0x0
	v_mul_lo_u32 v22, v15, s8
	v_mul_lo_u32 v23, v14, s9
	v_mad_co_u64_u32 v[14:15], null, v14, s8, 0
	s_mov_b32 s30, exec_lo
	v_add3_u32 v15, v15, v23, v22
	s_delay_alu instid0(VALU_DEP_1) | instskip(NEXT) | instid1(VALU_DEP_1)
	v_lshlrev_b64_e32 v[14:15], 2, v[14:15]
	v_add_co_u32 v14, vcc_lo, v20, v14
	s_wait_alu 0xfffd
	s_delay_alu instid0(VALU_DEP_2)
	v_add_co_ci_u32_e64 v15, null, v21, v15, vcc_lo
	global_load_b32 v22, v[8:9], off
	global_load_b32 v24, v[10:11], off
	;; [unrolled: 1-line block ×3, first 2 shown]
	s_wait_loadcnt 0x1
	v_add_f32_e32 v22, v22, v24
	s_wait_loadcnt 0x0
	v_cmpx_neq_f32_e32 0xff800000, v23
	s_cbranch_execz .LBB13_3
; %bb.9:                                ;   in Loop: Header=BB13_5 Depth=1
	s_delay_alu instid0(VALU_DEP_2) | instskip(SKIP_2) | instid1(VALU_DEP_1)
	v_cmp_gt_f32_e32 vcc_lo, v23, v22
	s_wait_alu 0xfffd
	v_cndmask_b32_e32 v24, v22, v23, vcc_lo
	v_sub_f32_e32 v23, v23, v24
	s_delay_alu instid0(VALU_DEP_1) | instskip(NEXT) | instid1(VALU_DEP_1)
	v_mul_f32_e32 v25, 0x3fb8aa3b, v23
	v_rndne_f32_e32 v28, v25
	v_fma_f32 v27, 0x3fb8aa3b, v23, -v25
	s_delay_alu instid0(VALU_DEP_2) | instskip(SKIP_1) | instid1(VALU_DEP_1)
	v_sub_f32_e32 v25, v25, v28
	v_sub_f32_e32 v22, v22, v24
	v_mul_f32_e32 v26, 0x3fb8aa3b, v22
	s_delay_alu instid0(VALU_DEP_4) | instskip(SKIP_1) | instid1(VALU_DEP_3)
	v_fmac_f32_e32 v27, 0x32a5705f, v23
	v_cmp_ngt_f32_e32 vcc_lo, 0xc2ce8ed0, v23
	v_fma_f32 v29, 0x3fb8aa3b, v22, -v26
	v_rndne_f32_e32 v30, v26
	s_delay_alu instid0(VALU_DEP_2) | instskip(NEXT) | instid1(VALU_DEP_2)
	v_fmac_f32_e32 v29, 0x32a5705f, v22
	v_dual_sub_f32 v26, v26, v30 :: v_dual_add_f32 v25, v25, v27
	v_cvt_i32_f32_e32 v27, v28
	v_cvt_i32_f32_e32 v28, v30
	s_delay_alu instid0(VALU_DEP_3) | instskip(NEXT) | instid1(VALU_DEP_4)
	v_add_f32_e32 v26, v26, v29
	v_exp_f32_e32 v25, v25
	s_delay_alu instid0(VALU_DEP_1) | instskip(NEXT) | instid1(TRANS32_DEP_2)
	v_exp_f32_e32 v26, v26
	v_ldexp_f32 v25, v25, v27
	s_delay_alu instid0(TRANS32_DEP_1) | instskip(SKIP_1) | instid1(VALU_DEP_2)
	v_ldexp_f32 v26, v26, v28
	s_wait_alu 0xfffd
	v_cndmask_b32_e32 v25, 0, v25, vcc_lo
	v_cmp_ngt_f32_e32 vcc_lo, 0xc2ce8ed0, v22
	s_wait_alu 0xfffd
	v_cndmask_b32_e32 v26, 0, v26, vcc_lo
	v_cmp_nlt_f32_e32 vcc_lo, 0x42b17218, v23
	s_wait_alu 0xfffd
	v_cndmask_b32_e32 v23, 0x7f800000, v25, vcc_lo
	v_cmp_nlt_f32_e32 vcc_lo, 0x42b17218, v22
	s_wait_alu 0xfffd
	v_cndmask_b32_e32 v22, 0x7f800000, v26, vcc_lo
	s_delay_alu instid0(VALU_DEP_1) | instskip(NEXT) | instid1(VALU_DEP_1)
	v_add_f32_e32 v22, v23, v22
	v_cmp_gt_f32_e32 vcc_lo, 0x800000, v22
	s_wait_alu 0xfffd
	v_cndmask_b32_e64 v23, 0, 32, vcc_lo
	s_delay_alu instid0(VALU_DEP_1) | instskip(NEXT) | instid1(VALU_DEP_1)
	v_ldexp_f32 v22, v22, v23
	v_log_f32_e32 v22, v22
	s_delay_alu instid0(TRANS32_DEP_1) | instskip(SKIP_1) | instid1(VALU_DEP_2)
	v_mul_f32_e32 v23, 0x3f317217, v22
	v_cmp_gt_f32_e64 s2, 0x7f800000, |v22|
	v_fma_f32 v23, 0x3f317217, v22, -v23
	s_delay_alu instid0(VALU_DEP_1) | instskip(NEXT) | instid1(VALU_DEP_1)
	v_fmac_f32_e32 v23, 0x3377d1cf, v22
	v_fmac_f32_e32 v23, 0x3f317217, v22
	s_wait_alu 0xf1ff
	s_delay_alu instid0(VALU_DEP_1) | instskip(SKIP_1) | instid1(VALU_DEP_1)
	v_cndmask_b32_e64 v22, v22, v23, s2
	v_cndmask_b32_e64 v23, 0, 0x41b17218, vcc_lo
	v_sub_f32_e32 v22, v22, v23
	s_delay_alu instid0(VALU_DEP_1)
	v_add_f32_e32 v22, v24, v22
	s_branch .LBB13_3
.LBB13_10:
	v_cmp_lt_i64_e64 s2, s[24:25], 1
	s_and_b32 vcc_lo, exec_lo, s2
	s_wait_alu 0xfffe
	s_cbranch_vccnz .LBB13_15
; %bb.11:
	s_clause 0x3
	s_load_b128 s[16:19], s[0:1], 0x8
	s_load_b64 s[2:3], s[0:1], 0x58
	s_load_b64 s[6:7], s[0:1], 0x28
	s_load_b32 s0, s[0:1], 0xe8
	s_wait_kmcnt 0x0
	v_mad_co_u64_u32 v[9:10], null, s18, v4, 0
	s_bitcmp1_b32 s0, 0
	s_cselect_b32 s0, -1, 0
	v_mov_b32_e32 v8, v10
	v_lshlrev_b64_e32 v[10:11], 2, v[4:5]
	s_delay_alu instid0(VALU_DEP_2) | instskip(NEXT) | instid1(VALU_DEP_2)
	v_mad_co_u64_u32 v[12:13], null, s19, v4, v[8:9]
	v_add_co_u32 v13, vcc_lo, s2, v10
	s_wait_alu 0xfffd
	s_delay_alu instid0(VALU_DEP_3) | instskip(SKIP_2) | instid1(VALU_DEP_3)
	v_add_co_ci_u32_e64 v14, null, s3, v11, vcc_lo
	s_wait_alu 0xfffe
	s_xor_b32 s2, s0, -1
	v_mov_b32_e32 v10, v12
	global_load_b32 v8, v[13:14], off
	v_mad_co_u64_u32 v[12:13], null, v0, s4, 0
	v_mad_co_u64_u32 v[14:15], null, v0, s10, 0
	v_lshlrev_b64_e32 v[9:10], 2, v[9:10]
	s_delay_alu instid0(VALU_DEP_3) | instskip(SKIP_1) | instid1(VALU_DEP_3)
	v_add3_u32 v13, v13, v17, v16
	v_mul_lo_u32 v16, v1, s10
	v_add_co_u32 v9, vcc_lo, s16, v9
	s_wait_alu 0xfffd
	s_delay_alu instid0(VALU_DEP_4) | instskip(SKIP_4) | instid1(VALU_DEP_2)
	v_add_co_ci_u32_e64 v10, null, s17, v10, vcc_lo
	v_mul_lo_u32 v17, v0, s11
	global_load_b32 v9, v[9:10], off
	v_mad_co_u64_u32 v[10:11], null, s12, v4, 0
	v_add3_u32 v15, v15, v17, v16
	v_mov_b32_e32 v5, v11
	s_delay_alu instid0(VALU_DEP_1) | instskip(NEXT) | instid1(VALU_DEP_1)
	v_mad_co_u64_u32 v[4:5], null, s13, v4, v[5:6]
	v_mov_b32_e32 v11, v4
	v_lshlrev_b64_e32 v[4:5], 2, v[12:13]
	v_add_co_u32 v12, vcc_lo, s22, v6
	s_wait_alu 0xfffd
	v_add_co_ci_u32_e64 v13, null, s23, v7, vcc_lo
	v_lshlrev_b64_e32 v[6:7], 2, v[10:11]
	s_delay_alu instid0(VALU_DEP_3) | instskip(SKIP_1) | instid1(VALU_DEP_3)
	v_add_co_u32 v4, vcc_lo, v12, v4
	s_wait_alu 0xfffd
	v_add_co_ci_u32_e64 v5, null, v13, v5, vcc_lo
	s_wait_loadcnt 0x2
	v_cmp_lt_i64_e32 vcc_lo, v[0:1], v[2:3]
	v_lshlrev_b64_e32 v[0:1], 2, v[14:15]
	v_add_co_u32 v2, s1, s6, v6
	s_wait_alu 0xf1ff
	v_add_co_ci_u32_e64 v3, null, s7, v7, s1
	s_wait_loadcnt 0x1
	v_cmp_neq_f32_e64 s0, 0x7f800000, v8
	s_wait_alu 0xfffe
	s_or_b32 s1, s2, s0
	v_add_co_u32 v0, s0, v2, v0
	s_wait_alu 0xf1ff
	v_add_co_ci_u32_e64 v1, null, v3, v1, s0
	s_wait_alu 0xfffe
	s_and_b32 s4, vcc_lo, s1
	s_lshl_b64 s[0:1], s[14:15], 2
	s_lshl_b64 s[2:3], s[8:9], 2
	s_branch .LBB13_13
.LBB13_12:                              ;   in Loop: Header=BB13_13 Depth=1
	s_wait_alu 0xfffe
	s_or_b32 exec_lo, exec_lo, s5
	v_add_co_u32 v0, vcc_lo, v0, s0
	global_store_b32 v[4:5], v2, off
	s_wait_alu 0xfffd
	v_add_co_ci_u32_e64 v1, null, s1, v1, vcc_lo
	v_add_co_u32 v4, vcc_lo, v4, s2
	s_wait_alu 0xfffd
	v_add_co_ci_u32_e64 v5, null, s3, v5, vcc_lo
	s_add_nc_u64 s[24:25], s[24:25], -1
	s_wait_alu 0xfffe
	s_cmp_lg_u64 s[24:25], 0
	s_cbranch_scc0 .LBB13_15
.LBB13_13:                              ; =>This Inner Loop Header: Depth=1
	v_mov_b32_e32 v2, 0
	s_wait_alu 0xfffe
	s_and_saveexec_b32 s5, s4
	s_cbranch_execz .LBB13_12
; %bb.14:                               ;   in Loop: Header=BB13_13 Depth=1
	global_load_b32 v2, v[4:5], off
	global_load_b32 v3, v[0:1], off
	s_wait_loadcnt 0x0
	v_mul_f32_e32 v6, 0x3fb8aa3b, v3
	v_cmp_ngt_f32_e32 vcc_lo, 0xc2ce8ed0, v3
	s_delay_alu instid0(VALU_DEP_2) | instskip(NEXT) | instid1(VALU_DEP_1)
	v_fma_f32 v11, 0x3fb8aa3b, v3, -v6
	v_dual_add_f32 v2, v8, v2 :: v_dual_fmac_f32 v11, 0x32a5705f, v3
	s_delay_alu instid0(VALU_DEP_1) | instskip(NEXT) | instid1(VALU_DEP_1)
	v_sub_f32_e32 v2, v2, v3
	v_mul_f32_e32 v7, 0x3fb8aa3b, v2
	v_rndne_f32_e32 v10, v6
	s_delay_alu instid0(VALU_DEP_2) | instskip(SKIP_1) | instid1(VALU_DEP_1)
	v_fma_f32 v12, 0x3fb8aa3b, v2, -v7
	v_rndne_f32_e32 v13, v7
	v_dual_sub_f32 v7, v7, v13 :: v_dual_fmac_f32 v12, 0x32a5705f, v2
	s_delay_alu instid0(VALU_DEP_4) | instskip(SKIP_1) | instid1(VALU_DEP_2)
	v_sub_f32_e32 v6, v6, v10
	v_cvt_i32_f32_e32 v10, v10
	v_dual_add_f32 v7, v7, v12 :: v_dual_add_f32 v6, v6, v11
	v_cvt_i32_f32_e32 v11, v13
	s_delay_alu instid0(VALU_DEP_2) | instskip(NEXT) | instid1(VALU_DEP_2)
	v_exp_f32_e32 v7, v7
	v_exp_f32_e32 v6, v6
	s_delay_alu instid0(TRANS32_DEP_2) | instskip(NEXT) | instid1(TRANS32_DEP_1)
	v_ldexp_f32 v7, v7, v11
	v_ldexp_f32 v6, v6, v10
	s_wait_alu 0xfffd
	s_delay_alu instid0(VALU_DEP_1)
	v_cndmask_b32_e32 v6, 0, v6, vcc_lo
	v_cmp_ngt_f32_e32 vcc_lo, 0xc2ce8ed0, v2
	s_wait_alu 0xfffd
	v_cndmask_b32_e32 v7, 0, v7, vcc_lo
	v_cmp_nlt_f32_e32 vcc_lo, 0x42b17218, v3
	s_wait_alu 0xfffd
	v_cndmask_b32_e32 v3, 0x7f800000, v6, vcc_lo
	v_cmp_nlt_f32_e32 vcc_lo, 0x42b17218, v2
	s_wait_alu 0xfffd
	v_cndmask_b32_e32 v2, 0x7f800000, v7, vcc_lo
	s_delay_alu instid0(VALU_DEP_1) | instskip(NEXT) | instid1(VALU_DEP_1)
	v_sub_f32_e32 v2, v3, v2
	v_mul_f32_e32 v2, v9, v2
	s_branch .LBB13_12
.LBB13_15:
	s_endpgm
	.section	.rodata,"a",@progbits
	.p2align	6, 0x0
	.amdhsa_kernel _ZN2at6native12_GLOBAL__N_136ctc_loss_backward_collect_gpu_kernelIflEEvPT_PKS3_lS6_S6_S6_PKllPKT0_S8_lS6_llllllllllllS8_llllb
		.amdhsa_group_segment_fixed_size 0
		.amdhsa_private_segment_fixed_size 0
		.amdhsa_kernarg_size 496
		.amdhsa_user_sgpr_count 2
		.amdhsa_user_sgpr_dispatch_ptr 0
		.amdhsa_user_sgpr_queue_ptr 0
		.amdhsa_user_sgpr_kernarg_segment_ptr 1
		.amdhsa_user_sgpr_dispatch_id 0
		.amdhsa_user_sgpr_private_segment_size 0
		.amdhsa_wavefront_size32 1
		.amdhsa_uses_dynamic_stack 0
		.amdhsa_enable_private_segment 0
		.amdhsa_system_sgpr_workgroup_id_x 1
		.amdhsa_system_sgpr_workgroup_id_y 1
		.amdhsa_system_sgpr_workgroup_id_z 0
		.amdhsa_system_sgpr_workgroup_info 0
		.amdhsa_system_vgpr_workitem_id 1
		.amdhsa_next_free_vgpr 31
		.amdhsa_next_free_sgpr 48
		.amdhsa_reserve_vcc 1
		.amdhsa_float_round_mode_32 0
		.amdhsa_float_round_mode_16_64 0
		.amdhsa_float_denorm_mode_32 3
		.amdhsa_float_denorm_mode_16_64 3
		.amdhsa_fp16_overflow 0
		.amdhsa_workgroup_processor_mode 1
		.amdhsa_memory_ordered 1
		.amdhsa_forward_progress 1
		.amdhsa_inst_pref_size 18
		.amdhsa_round_robin_scheduling 0
		.amdhsa_exception_fp_ieee_invalid_op 0
		.amdhsa_exception_fp_denorm_src 0
		.amdhsa_exception_fp_ieee_div_zero 0
		.amdhsa_exception_fp_ieee_overflow 0
		.amdhsa_exception_fp_ieee_underflow 0
		.amdhsa_exception_fp_ieee_inexact 0
		.amdhsa_exception_int_div_zero 0
	.end_amdhsa_kernel
	.section	.text._ZN2at6native12_GLOBAL__N_136ctc_loss_backward_collect_gpu_kernelIflEEvPT_PKS3_lS6_S6_S6_PKllPKT0_S8_lS6_llllllllllllS8_llllb,"axG",@progbits,_ZN2at6native12_GLOBAL__N_136ctc_loss_backward_collect_gpu_kernelIflEEvPT_PKS3_lS6_S6_S6_PKllPKT0_S8_lS6_llllllllllllS8_llllb,comdat
.Lfunc_end13:
	.size	_ZN2at6native12_GLOBAL__N_136ctc_loss_backward_collect_gpu_kernelIflEEvPT_PKS3_lS6_S6_S6_PKllPKT0_S8_lS6_llllllllllllS8_llllb, .Lfunc_end13-_ZN2at6native12_GLOBAL__N_136ctc_loss_backward_collect_gpu_kernelIflEEvPT_PKS3_lS6_S6_S6_PKllPKT0_S8_lS6_llllllllllllS8_llllb
                                        ; -- End function
	.set _ZN2at6native12_GLOBAL__N_136ctc_loss_backward_collect_gpu_kernelIflEEvPT_PKS3_lS6_S6_S6_PKllPKT0_S8_lS6_llllllllllllS8_llllb.num_vgpr, 31
	.set _ZN2at6native12_GLOBAL__N_136ctc_loss_backward_collect_gpu_kernelIflEEvPT_PKS3_lS6_S6_S6_PKllPKT0_S8_lS6_llllllllllllS8_llllb.num_agpr, 0
	.set _ZN2at6native12_GLOBAL__N_136ctc_loss_backward_collect_gpu_kernelIflEEvPT_PKS3_lS6_S6_S6_PKllPKT0_S8_lS6_llllllllllllS8_llllb.numbered_sgpr, 48
	.set _ZN2at6native12_GLOBAL__N_136ctc_loss_backward_collect_gpu_kernelIflEEvPT_PKS3_lS6_S6_S6_PKllPKT0_S8_lS6_llllllllllllS8_llllb.num_named_barrier, 0
	.set _ZN2at6native12_GLOBAL__N_136ctc_loss_backward_collect_gpu_kernelIflEEvPT_PKS3_lS6_S6_S6_PKllPKT0_S8_lS6_llllllllllllS8_llllb.private_seg_size, 0
	.set _ZN2at6native12_GLOBAL__N_136ctc_loss_backward_collect_gpu_kernelIflEEvPT_PKS3_lS6_S6_S6_PKllPKT0_S8_lS6_llllllllllllS8_llllb.uses_vcc, 1
	.set _ZN2at6native12_GLOBAL__N_136ctc_loss_backward_collect_gpu_kernelIflEEvPT_PKS3_lS6_S6_S6_PKllPKT0_S8_lS6_llllllllllllS8_llllb.uses_flat_scratch, 0
	.set _ZN2at6native12_GLOBAL__N_136ctc_loss_backward_collect_gpu_kernelIflEEvPT_PKS3_lS6_S6_S6_PKllPKT0_S8_lS6_llllllllllllS8_llllb.has_dyn_sized_stack, 0
	.set _ZN2at6native12_GLOBAL__N_136ctc_loss_backward_collect_gpu_kernelIflEEvPT_PKS3_lS6_S6_S6_PKllPKT0_S8_lS6_llllllllllllS8_llllb.has_recursion, 0
	.set _ZN2at6native12_GLOBAL__N_136ctc_loss_backward_collect_gpu_kernelIflEEvPT_PKS3_lS6_S6_S6_PKllPKT0_S8_lS6_llllllllllllS8_llllb.has_indirect_call, 0
	.section	.AMDGPU.csdata,"",@progbits
; Kernel info:
; codeLenInByte = 2180
; TotalNumSgprs: 50
; NumVgprs: 31
; ScratchSize: 0
; MemoryBound: 0
; FloatMode: 240
; IeeeMode: 1
; LDSByteSize: 0 bytes/workgroup (compile time only)
; SGPRBlocks: 0
; VGPRBlocks: 3
; NumSGPRsForWavesPerEU: 50
; NumVGPRsForWavesPerEU: 31
; Occupancy: 16
; WaveLimiterHint : 1
; COMPUTE_PGM_RSRC2:SCRATCH_EN: 0
; COMPUTE_PGM_RSRC2:USER_SGPR: 2
; COMPUTE_PGM_RSRC2:TRAP_HANDLER: 0
; COMPUTE_PGM_RSRC2:TGID_X_EN: 1
; COMPUTE_PGM_RSRC2:TGID_Y_EN: 1
; COMPUTE_PGM_RSRC2:TGID_Z_EN: 0
; COMPUTE_PGM_RSRC2:TIDIG_COMP_CNT: 1
	.section	.text._ZN2at6native12_GLOBAL__N_130ctc_loss_zero_padded_gradientsIfEEvPT_PKlllllll,"axG",@progbits,_ZN2at6native12_GLOBAL__N_130ctc_loss_zero_padded_gradientsIfEEvPT_PKlllllll,comdat
	.globl	_ZN2at6native12_GLOBAL__N_130ctc_loss_zero_padded_gradientsIfEEvPT_PKlllllll ; -- Begin function _ZN2at6native12_GLOBAL__N_130ctc_loss_zero_padded_gradientsIfEEvPT_PKlllllll
	.p2align	8
	.type	_ZN2at6native12_GLOBAL__N_130ctc_loss_zero_padded_gradientsIfEEvPT_PKlllllll,@function
_ZN2at6native12_GLOBAL__N_130ctc_loss_zero_padded_gradientsIfEEvPT_PKlllllll: ; @_ZN2at6native12_GLOBAL__N_130ctc_loss_zero_padded_gradientsIfEEvPT_PKlllllll
; %bb.0:
	s_load_b32 s2, s[0:1], 0x4c
	v_bfe_u32 v1, v0, 10, 10
	s_clause 0x1
	s_load_b128 s[12:15], s[0:1], 0x30
	s_load_b256 s[4:11], s[0:1], 0x10
	v_and_b32_e32 v3, 0x3ff, v0
	s_wait_kmcnt 0x0
	s_lshr_b32 s3, s2, 16
	s_and_b32 s2, s2, 0xffff
	v_mad_co_u64_u32 v[1:2], null, ttmp7, s3, v[1:2]
	v_mov_b32_e32 v2, 0
	s_delay_alu instid0(VALU_DEP_1) | instskip(NEXT) | instid1(VALU_DEP_3)
	v_mov_b32_e32 v4, v2
	v_cmp_gt_i64_e32 vcc_lo, s[12:13], v[1:2]
	s_delay_alu instid0(VALU_DEP_2) | instskip(NEXT) | instid1(VALU_DEP_1)
	v_mad_co_u64_u32 v[3:4], null, s2, ttmp9, v[3:4]
	v_cmp_gt_i64_e64 s2, s[10:11], v[3:4]
	s_and_b32 s2, vcc_lo, s2
	s_wait_alu 0xfffe
	s_and_saveexec_b32 s3, s2
	s_cbranch_execz .LBB14_4
; %bb.1:
	s_load_b64 s[2:3], s[0:1], 0x8
	v_lshlrev_b64_e32 v[5:6], 3, v[1:2]
	v_clz_i32_u32_e32 v7, v4
	v_cmp_gt_i64_e64 s10, s[14:15], 0
	s_wait_kmcnt 0x0
	s_delay_alu instid0(VALU_DEP_3) | instskip(NEXT) | instid1(VALU_DEP_1)
	v_add_co_u32 v5, vcc_lo, s2, v5
	v_add_co_ci_u32_e64 v6, null, s3, v6, vcc_lo
	s_mov_b64 s[2:3], 0
	global_load_b64 v[5:6], v[5:6], off
	s_wait_loadcnt 0x0
	v_xor_b32_e32 v0, v5, v6
	v_cls_i32_e32 v2, v6
	s_delay_alu instid0(VALU_DEP_2) | instskip(NEXT) | instid1(VALU_DEP_2)
	v_ashrrev_i32_e32 v0, 31, v0
	v_add_nc_u32_e32 v2, -1, v2
	s_delay_alu instid0(VALU_DEP_2) | instskip(NEXT) | instid1(VALU_DEP_1)
	v_add_nc_u32_e32 v0, 32, v0
	v_min_u32_e32 v0, v2, v0
	v_min_u32_e32 v2, 32, v7
	s_delay_alu instid0(VALU_DEP_2) | instskip(NEXT) | instid1(VALU_DEP_2)
	v_lshlrev_b64_e32 v[5:6], v0, v[5:6]
	v_lshlrev_b64_e32 v[7:8], v2, v[3:4]
	v_sub_nc_u32_e32 v2, 32, v2
	v_sub_nc_u32_e32 v0, 32, v0
	s_delay_alu instid0(VALU_DEP_4) | instskip(NEXT) | instid1(VALU_DEP_4)
	v_min_u32_e32 v5, 1, v5
	v_min_u32_e32 v7, 1, v7
	s_delay_alu instid0(VALU_DEP_2) | instskip(NEXT) | instid1(VALU_DEP_2)
	v_or_b32_e32 v5, v6, v5
	v_or_b32_e32 v6, v8, v7
	s_delay_alu instid0(VALU_DEP_2) | instskip(NEXT) | instid1(VALU_DEP_2)
	v_cvt_f32_i32_e32 v5, v5
	v_cvt_f32_u32_e32 v6, v6
	s_delay_alu instid0(VALU_DEP_2) | instskip(NEXT) | instid1(VALU_DEP_2)
	v_ldexp_f32 v0, v5, v0
	v_ldexp_f32 v2, v6, v2
	s_delay_alu instid0(VALU_DEP_1)
	v_cmp_ge_f32_e32 vcc_lo, v2, v0
	s_and_b32 s10, vcc_lo, s10
	s_wait_alu 0xfffe
	s_and_b32 exec_lo, exec_lo, s10
	s_cbranch_execz .LBB14_4
; %bb.2:
	v_mad_co_u64_u32 v[5:6], null, s6, v1, 0
	s_load_b64 s[0:1], s[0:1], 0x0
	v_mul_lo_u32 v4, v4, s4
	v_mul_lo_u32 v7, v3, s5
	v_mad_co_u64_u32 v[2:3], null, v3, s4, 0
	v_mov_b32_e32 v0, v6
	s_delay_alu instid0(VALU_DEP_2) | instskip(NEXT) | instid1(VALU_DEP_2)
	v_add3_u32 v3, v3, v7, v4
	v_mad_co_u64_u32 v[0:1], null, s7, v1, v[0:1]
	s_delay_alu instid0(VALU_DEP_1) | instskip(NEXT) | instid1(VALU_DEP_3)
	v_mov_b32_e32 v6, v0
	v_lshlrev_b64_e32 v[0:1], 2, v[2:3]
	s_delay_alu instid0(VALU_DEP_2) | instskip(SKIP_1) | instid1(VALU_DEP_2)
	v_lshlrev_b64_e32 v[2:3], 2, v[5:6]
	s_wait_kmcnt 0x0
	v_add_co_u32 v0, vcc_lo, s0, v0
	s_wait_alu 0xfffd
	s_delay_alu instid0(VALU_DEP_3)
	v_add_co_ci_u32_e64 v1, null, s1, v1, vcc_lo
	s_lshl_b64 s[0:1], s[8:9], 2
	v_add_co_u32 v0, vcc_lo, v0, v2
	s_wait_alu 0xfffd
	v_add_co_ci_u32_e64 v1, null, v1, v3, vcc_lo
	v_mov_b32_e32 v2, 0
.LBB14_3:                               ; =>This Inner Loop Header: Depth=1
	s_add_nc_u64 s[2:3], s[2:3], 1
	global_store_b32 v[0:1], v2, off
	s_wait_alu 0xfffe
	v_cmp_gt_i64_e64 s4, s[14:15], s[2:3]
	v_add_co_u32 v0, vcc_lo, v0, s0
	s_wait_alu 0xfffd
	v_add_co_ci_u32_e64 v1, null, s1, v1, vcc_lo
	s_and_b32 vcc_lo, exec_lo, s4
	s_wait_alu 0xfffe
	s_cbranch_vccnz .LBB14_3
.LBB14_4:
	s_endpgm
	.section	.rodata,"a",@progbits
	.p2align	6, 0x0
	.amdhsa_kernel _ZN2at6native12_GLOBAL__N_130ctc_loss_zero_padded_gradientsIfEEvPT_PKlllllll
		.amdhsa_group_segment_fixed_size 0
		.amdhsa_private_segment_fixed_size 0
		.amdhsa_kernarg_size 320
		.amdhsa_user_sgpr_count 2
		.amdhsa_user_sgpr_dispatch_ptr 0
		.amdhsa_user_sgpr_queue_ptr 0
		.amdhsa_user_sgpr_kernarg_segment_ptr 1
		.amdhsa_user_sgpr_dispatch_id 0
		.amdhsa_user_sgpr_private_segment_size 0
		.amdhsa_wavefront_size32 1
		.amdhsa_uses_dynamic_stack 0
		.amdhsa_enable_private_segment 0
		.amdhsa_system_sgpr_workgroup_id_x 1
		.amdhsa_system_sgpr_workgroup_id_y 1
		.amdhsa_system_sgpr_workgroup_id_z 0
		.amdhsa_system_sgpr_workgroup_info 0
		.amdhsa_system_vgpr_workitem_id 1
		.amdhsa_next_free_vgpr 9
		.amdhsa_next_free_sgpr 16
		.amdhsa_reserve_vcc 1
		.amdhsa_float_round_mode_32 0
		.amdhsa_float_round_mode_16_64 0
		.amdhsa_float_denorm_mode_32 3
		.amdhsa_float_denorm_mode_16_64 3
		.amdhsa_fp16_overflow 0
		.amdhsa_workgroup_processor_mode 1
		.amdhsa_memory_ordered 1
		.amdhsa_forward_progress 1
		.amdhsa_inst_pref_size 5
		.amdhsa_round_robin_scheduling 0
		.amdhsa_exception_fp_ieee_invalid_op 0
		.amdhsa_exception_fp_denorm_src 0
		.amdhsa_exception_fp_ieee_div_zero 0
		.amdhsa_exception_fp_ieee_overflow 0
		.amdhsa_exception_fp_ieee_underflow 0
		.amdhsa_exception_fp_ieee_inexact 0
		.amdhsa_exception_int_div_zero 0
	.end_amdhsa_kernel
	.section	.text._ZN2at6native12_GLOBAL__N_130ctc_loss_zero_padded_gradientsIfEEvPT_PKlllllll,"axG",@progbits,_ZN2at6native12_GLOBAL__N_130ctc_loss_zero_padded_gradientsIfEEvPT_PKlllllll,comdat
.Lfunc_end14:
	.size	_ZN2at6native12_GLOBAL__N_130ctc_loss_zero_padded_gradientsIfEEvPT_PKlllllll, .Lfunc_end14-_ZN2at6native12_GLOBAL__N_130ctc_loss_zero_padded_gradientsIfEEvPT_PKlllllll
                                        ; -- End function
	.set _ZN2at6native12_GLOBAL__N_130ctc_loss_zero_padded_gradientsIfEEvPT_PKlllllll.num_vgpr, 9
	.set _ZN2at6native12_GLOBAL__N_130ctc_loss_zero_padded_gradientsIfEEvPT_PKlllllll.num_agpr, 0
	.set _ZN2at6native12_GLOBAL__N_130ctc_loss_zero_padded_gradientsIfEEvPT_PKlllllll.numbered_sgpr, 16
	.set _ZN2at6native12_GLOBAL__N_130ctc_loss_zero_padded_gradientsIfEEvPT_PKlllllll.num_named_barrier, 0
	.set _ZN2at6native12_GLOBAL__N_130ctc_loss_zero_padded_gradientsIfEEvPT_PKlllllll.private_seg_size, 0
	.set _ZN2at6native12_GLOBAL__N_130ctc_loss_zero_padded_gradientsIfEEvPT_PKlllllll.uses_vcc, 1
	.set _ZN2at6native12_GLOBAL__N_130ctc_loss_zero_padded_gradientsIfEEvPT_PKlllllll.uses_flat_scratch, 0
	.set _ZN2at6native12_GLOBAL__N_130ctc_loss_zero_padded_gradientsIfEEvPT_PKlllllll.has_dyn_sized_stack, 0
	.set _ZN2at6native12_GLOBAL__N_130ctc_loss_zero_padded_gradientsIfEEvPT_PKlllllll.has_recursion, 0
	.set _ZN2at6native12_GLOBAL__N_130ctc_loss_zero_padded_gradientsIfEEvPT_PKlllllll.has_indirect_call, 0
	.section	.AMDGPU.csdata,"",@progbits
; Kernel info:
; codeLenInByte = 528
; TotalNumSgprs: 18
; NumVgprs: 9
; ScratchSize: 0
; MemoryBound: 0
; FloatMode: 240
; IeeeMode: 1
; LDSByteSize: 0 bytes/workgroup (compile time only)
; SGPRBlocks: 0
; VGPRBlocks: 1
; NumSGPRsForWavesPerEU: 18
; NumVGPRsForWavesPerEU: 9
; Occupancy: 16
; WaveLimiterHint : 0
; COMPUTE_PGM_RSRC2:SCRATCH_EN: 0
; COMPUTE_PGM_RSRC2:USER_SGPR: 2
; COMPUTE_PGM_RSRC2:TRAP_HANDLER: 0
; COMPUTE_PGM_RSRC2:TGID_X_EN: 1
; COMPUTE_PGM_RSRC2:TGID_Y_EN: 1
; COMPUTE_PGM_RSRC2:TGID_Z_EN: 0
; COMPUTE_PGM_RSRC2:TIDIG_COMP_CNT: 1
	.section	.text._ZN2at6native12_GLOBAL__N_137ctc_loss_backward_log_beta_gpu_kernelIfiEEvPT_PKS3_PKllPKT0_S8_lllllllS8_lll,"axG",@progbits,_ZN2at6native12_GLOBAL__N_137ctc_loss_backward_log_beta_gpu_kernelIfiEEvPT_PKS3_PKllPKT0_S8_lllllllS8_lll,comdat
	.globl	_ZN2at6native12_GLOBAL__N_137ctc_loss_backward_log_beta_gpu_kernelIfiEEvPT_PKS3_PKllPKT0_S8_lllllllS8_lll ; -- Begin function _ZN2at6native12_GLOBAL__N_137ctc_loss_backward_log_beta_gpu_kernelIfiEEvPT_PKS3_PKllPKT0_S8_lllllllS8_lll
	.p2align	8
	.type	_ZN2at6native12_GLOBAL__N_137ctc_loss_backward_log_beta_gpu_kernelIfiEEvPT_PKS3_PKllPKT0_S8_lllllllS8_lll,@function
_ZN2at6native12_GLOBAL__N_137ctc_loss_backward_log_beta_gpu_kernelIfiEEvPT_PKS3_PKllPKT0_S8_lllllllS8_lll: ; @_ZN2at6native12_GLOBAL__N_137ctc_loss_backward_log_beta_gpu_kernelIfiEEvPT_PKS3_PKllPKT0_S8_lllllllS8_lll
; %bb.0:
	s_clause 0x1
	s_load_u16 s2, s[0:1], 0x96
	s_load_b128 s[20:23], s[0:1], 0x70
	v_bfe_u32 v1, v0, 10, 10
	s_wait_kmcnt 0x0
	s_delay_alu instid0(VALU_DEP_1) | instskip(SKIP_2) | instid1(VALU_DEP_1)
	v_mad_co_u64_u32 v[9:10], null, ttmp7, s2, v[1:2]
	v_mov_b32_e32 v10, 0
	s_mov_b32 s2, exec_lo
	v_cmpx_gt_i64_e64 s[22:23], v[9:10]
	s_cbranch_execz .LBB15_43
; %bb.1:
	s_load_b64 s[2:3], s[0:1], 0x10
	v_lshlrev_b64_e32 v[3:4], 3, v[9:10]
	s_wait_kmcnt 0x0
	s_delay_alu instid0(VALU_DEP_1) | instskip(NEXT) | instid1(VALU_DEP_1)
	v_add_co_u32 v1, vcc_lo, s2, v3
	v_add_co_ci_u32_e64 v2, null, s3, v4, vcc_lo
	global_load_b64 v[1:2], v[1:2], off
	s_wait_loadcnt 0x0
	v_cmp_ne_u64_e32 vcc_lo, 0, v[1:2]
	s_and_b32 exec_lo, exec_lo, vcc_lo
	s_cbranch_execz .LBB15_43
; %bb.2:
	s_clause 0x1
	s_load_b64 s[2:3], s[0:1], 0x28
	s_load_b64 s[4:5], s[0:1], 0x68
	s_mov_b32 s23, 0
	s_wait_kmcnt 0x0
	v_add_co_u32 v5, vcc_lo, s2, v3
	s_wait_alu 0xfffd
	v_add_co_ci_u32_e64 v6, null, s3, v4, vcc_lo
	v_add_co_u32 v3, vcc_lo, s4, v3
	s_wait_alu 0xfffd
	v_add_co_ci_u32_e64 v4, null, s5, v4, vcc_lo
	global_load_b64 v[11:12], v[5:6], off
	global_load_b64 v[7:8], v[3:4], off
	s_load_b256 s[4:11], s[0:1], 0x30
	s_add_nc_u64 s[2:3], s[0:1], 0x88
	s_load_b32 s12, s[2:3], 0xc
	s_mov_b32 s2, s23
	s_wait_kmcnt 0x0
	s_lshl_b64 s[28:29], s[4:5], 1
	s_delay_alu instid0(SALU_CYCLE_1)
	s_mov_b32 s3, s29
	s_and_b32 s22, s12, 0xffff
	s_wait_alu 0xfffe
	s_cmp_lg_u64 s[2:3], 0
	s_cbranch_scc0 .LBB15_44
; %bb.3:
	s_add_nc_u64 s[2:3], s[22:23], 0
	s_mov_b32 s15, s23
	s_wait_alu 0xfffe
	s_xor_b64 s[2:3], s[2:3], 0
	s_mov_b32 s19, s23
	s_wait_alu 0xfffe
	s_cvt_f32_u32 s4, s2
	s_cvt_f32_u32 s5, s3
	s_sub_nc_u64 s[12:13], 0, s[2:3]
	s_wait_alu 0xfffe
	s_delay_alu instid0(SALU_CYCLE_1) | instskip(SKIP_1) | instid1(SALU_CYCLE_2)
	s_fmamk_f32 s4, s5, 0x4f800000, s4
	s_wait_alu 0xfffe
	v_s_rcp_f32 s4, s4
	s_delay_alu instid0(TRANS32_DEP_1) | instskip(SKIP_1) | instid1(SALU_CYCLE_2)
	s_mul_f32 s4, s4, 0x5f7ffffc
	s_wait_alu 0xfffe
	s_mul_f32 s5, s4, 0x2f800000
	s_wait_alu 0xfffe
	s_delay_alu instid0(SALU_CYCLE_2) | instskip(SKIP_1) | instid1(SALU_CYCLE_2)
	s_trunc_f32 s5, s5
	s_wait_alu 0xfffe
	s_fmamk_f32 s4, s5, 0xcf800000, s4
	s_cvt_u32_f32 s5, s5
	s_wait_alu 0xfffe
	s_delay_alu instid0(SALU_CYCLE_1) | instskip(SKIP_1) | instid1(SALU_CYCLE_2)
	s_cvt_u32_f32 s4, s4
	s_wait_alu 0xfffe
	s_mul_u64 s[16:17], s[12:13], s[4:5]
	s_delay_alu instid0(SALU_CYCLE_1)
	s_mul_hi_u32 s25, s4, s17
	s_mul_i32 s24, s4, s17
	s_mul_hi_u32 s14, s4, s16
	s_mul_i32 s26, s5, s16
	s_add_nc_u64 s[14:15], s[14:15], s[24:25]
	s_mul_hi_u32 s18, s5, s16
	s_mul_hi_u32 s27, s5, s17
	s_add_co_u32 s14, s14, s26
	s_add_co_ci_u32 s18, s15, s18
	s_mul_i32 s16, s5, s17
	s_add_co_ci_u32 s17, s27, 0
	s_delay_alu instid0(SALU_CYCLE_1) | instskip(SKIP_3) | instid1(SALU_CYCLE_1)
	s_add_nc_u64 s[14:15], s[18:19], s[16:17]
	s_mov_b32 s17, s23
	s_add_co_u32 s4, s4, s14
	s_cselect_b32 s14, -1, 0
	s_cmp_lg_u32 s14, 0
	s_add_co_ci_u32 s5, s5, s15
	s_mov_b32 s15, s23
	s_wait_alu 0xfffe
	s_mul_u64 s[12:13], s[12:13], s[4:5]
	s_delay_alu instid0(SALU_CYCLE_1)
	s_mul_hi_u32 s19, s4, s13
	s_mul_i32 s18, s4, s13
	s_mul_hi_u32 s14, s4, s12
	s_mul_i32 s24, s5, s12
	s_add_nc_u64 s[14:15], s[14:15], s[18:19]
	s_mul_hi_u32 s16, s5, s12
	s_mul_hi_u32 s25, s5, s13
	s_mul_i32 s12, s5, s13
	s_add_co_u32 s13, s14, s24
	s_add_co_ci_u32 s16, s15, s16
	s_add_co_ci_u32 s13, s25, 0
	s_mov_b32 s15, s23
	s_add_nc_u64 s[12:13], s[16:17], s[12:13]
	s_delay_alu instid0(SALU_CYCLE_1)
	s_add_co_u32 s16, s4, s12
	s_cselect_b32 s4, -1, 0
	s_wait_alu 0xfffe
	s_cmp_lg_u32 s4, 0
	s_add_co_ci_u32 s24, s5, s13
	s_ashr_i32 s4, s29, 31
	s_wait_alu 0xfffe
	s_mov_b32 s5, s4
	s_wait_alu 0xfffe
	s_add_nc_u64 s[12:13], s[28:29], s[4:5]
	s_delay_alu instid0(SALU_CYCLE_1) | instskip(NEXT) | instid1(SALU_CYCLE_1)
	s_xor_b64 s[12:13], s[12:13], s[4:5]
	s_mul_hi_u32 s19, s12, s24
	s_mul_i32 s18, s12, s24
	s_mul_hi_u32 s14, s12, s16
	s_mul_hi_u32 s26, s13, s16
	s_mul_i32 s16, s13, s16
	s_add_nc_u64 s[14:15], s[14:15], s[18:19]
	s_mul_hi_u32 s25, s13, s24
	s_add_co_u32 s14, s14, s16
	s_add_co_ci_u32 s16, s15, s26
	s_mul_i32 s18, s13, s24
	s_add_co_ci_u32 s19, s25, 0
	s_delay_alu instid0(SALU_CYCLE_1) | instskip(NEXT) | instid1(SALU_CYCLE_1)
	s_add_nc_u64 s[14:15], s[16:17], s[18:19]
	s_mul_u64 s[14:15], s[2:3], s[14:15]
	s_delay_alu instid0(SALU_CYCLE_1)
	s_sub_co_u32 s12, s12, s14
	s_cselect_b32 s14, -1, 0
	s_sub_co_i32 s16, s13, s15
	s_cmp_lg_u32 s14, 0
	s_sub_co_ci_u32 s16, s16, s3
	s_sub_co_u32 s17, s12, s2
	s_cselect_b32 s18, -1, 0
	s_delay_alu instid0(SALU_CYCLE_1) | instskip(SKIP_1) | instid1(SALU_CYCLE_1)
	s_cmp_lg_u32 s18, 0
	s_sub_co_ci_u32 s19, s16, 0
	s_cmp_ge_u32 s19, s3
	s_cselect_b32 s24, -1, 0
	s_cmp_ge_u32 s17, s2
	s_cselect_b32 s25, -1, 0
	s_cmp_eq_u32 s19, s3
	s_cselect_b32 s24, s25, s24
	s_cmp_lg_u32 s18, 0
	s_sub_co_ci_u32 s16, s16, s3
	s_sub_co_u32 s18, s17, s2
	s_cselect_b32 s25, -1, 0
	s_delay_alu instid0(SALU_CYCLE_1)
	s_cmp_lg_u32 s25, 0
	s_sub_co_ci_u32 s16, s16, 0
	s_cmp_lg_u32 s24, 0
	s_cselect_b32 s17, s18, s17
	s_cselect_b32 s16, s16, s19
	s_cmp_lg_u32 s14, 0
	s_sub_co_ci_u32 s13, s13, s15
	s_delay_alu instid0(SALU_CYCLE_1)
	s_cmp_ge_u32 s13, s3
	s_cselect_b32 s14, -1, 0
	s_cmp_ge_u32 s12, s2
	s_cselect_b32 s2, -1, 0
	s_cmp_eq_u32 s13, s3
	s_wait_alu 0xfffe
	s_cselect_b32 s2, s2, s14
	s_wait_alu 0xfffe
	s_cmp_lg_u32 s2, 0
	s_cselect_b32 s3, s16, s13
	s_cselect_b32 s2, s17, s12
	s_wait_alu 0xfffe
	s_xor_b64 s[2:3], s[2:3], s[4:5]
	s_wait_alu 0xfffe
	s_sub_nc_u64 s[2:3], s[2:3], s[4:5]
	s_mov_b32 s4, s23
	s_wait_alu 0xfffe
	s_and_not1_b32 vcc_lo, exec_lo, s4
	s_wait_alu 0xfffe
	s_cbranch_vccnz .LBB15_5
.LBB15_4:
	v_cvt_f32_u32_e32 v3, s22
	s_sub_co_i32 s3, 0, s22
	s_delay_alu instid0(VALU_DEP_1) | instskip(NEXT) | instid1(TRANS32_DEP_1)
	v_rcp_iflag_f32_e32 v3, v3
	v_mul_f32_e32 v3, 0x4f7ffffe, v3
	s_delay_alu instid0(VALU_DEP_1) | instskip(NEXT) | instid1(VALU_DEP_1)
	v_cvt_u32_f32_e32 v3, v3
	v_readfirstlane_b32 s2, v3
	s_wait_alu 0xfffe
	s_mul_i32 s3, s3, s2
	s_wait_alu 0xfffe
	s_mul_hi_u32 s3, s2, s3
	s_wait_alu 0xfffe
	s_add_co_i32 s2, s2, s3
	s_wait_alu 0xfffe
	s_mul_hi_u32 s2, s28, s2
	s_wait_alu 0xfffe
	s_mul_i32 s2, s2, s22
	s_wait_alu 0xfffe
	s_sub_co_i32 s2, s28, s2
	s_wait_alu 0xfffe
	s_sub_co_i32 s3, s2, s22
	s_cmp_ge_u32 s2, s22
	s_wait_alu 0xfffe
	s_cselect_b32 s2, s3, s2
	s_mov_b32 s3, 0
	s_wait_alu 0xfffe
	s_sub_co_i32 s4, s2, s22
	s_cmp_ge_u32 s2, s22
	s_wait_alu 0xfffe
	s_cselect_b32 s2, s4, s2
.LBB15_5:
	s_wait_alu 0xfffe
	s_sub_nc_u64 s[30:31], s[28:29], s[2:3]
	s_delay_alu instid0(SALU_CYCLE_1)
	v_cmp_lt_i64_e64 s4, s[30:31], 0
	s_and_b32 vcc_lo, exec_lo, s4
	s_wait_alu 0xfffe
	s_cbranch_vccnz .LBB15_43
; %bb.6:
	v_mad_co_u64_u32 v[13:14], null, s8, v9, 0
	s_clause 0x2
	s_load_b64 s[34:35], s[0:1], 0x80
	s_load_b128 s[24:27], s[0:1], 0x0
	s_load_b64 s[4:5], s[0:1], 0x20
	v_add_co_u32 v3, vcc_lo, v1, -1
	s_wait_alu 0xfffd
	v_add_co_ci_u32_e64 v4, null, -1, v2, vcc_lo
	s_load_b256 s[12:19], s[0:1], 0x50
	v_dual_mov_b32 v5, v14 :: v_dual_and_b32 v0, 0x3ff, v0
	v_mul_lo_u32 v10, v4, s6
	v_mul_lo_u32 v19, v3, s7
	s_wait_loadcnt 0x0
	v_lshlrev_b64_e32 v[17:18], 2, v[7:8]
	v_mad_co_u64_u32 v[14:15], null, s9, v9, v[5:6]
	v_mad_co_u64_u32 v[15:16], null, v3, s6, 0
	v_lshlrev_b64_e32 v[5:6], 1, v[11:12]
	s_delay_alu instid0(VALU_DEP_1) | instskip(NEXT) | instid1(VALU_DEP_3)
	v_add_co_u32 v7, vcc_lo, v5, -1
	v_add3_u32 v16, v16, v19, v10
	v_lshlrev_b64_e32 v[19:20], 2, v[13:14]
	s_wait_alu 0xfffd
	s_delay_alu instid0(VALU_DEP_4)
	v_add_co_ci_u32_e64 v8, null, -1, v6, vcc_lo
	s_wait_kmcnt 0x0
	v_add_co_u32 v31, vcc_lo, s4, v17
	v_lshlrev_b64_e32 v[13:14], 2, v[15:16]
	s_wait_alu 0xfffd
	v_add_co_ci_u32_e64 v32, null, s5, v18, vcc_lo
	v_add_co_u32 v10, vcc_lo, s26, v19
	s_wait_alu 0xfffd
	v_add_co_ci_u32_e64 v15, null, s27, v20, vcc_lo
	v_add_co_u32 v16, s4, s28, v0
	s_delay_alu instid0(VALU_DEP_3)
	v_add_co_u32 v29, vcc_lo, v10, v13
	s_wait_alu 0xf1ff
	v_add_co_ci_u32_e64 v10, null, s29, 0, s4
	v_mad_co_u64_u32 v[21:22], null, s12, v9, 0
	s_wait_alu 0xfffd
	v_add_co_ci_u32_e64 v30, null, v15, v14, vcc_lo
	v_sub_co_u32 v13, vcc_lo, v16, s2
	s_wait_alu 0xfffd
	v_subrev_co_ci_u32_e64 v14, null, s3, v10, vcc_lo
	v_mul_lo_u32 v26, s15, v3
	s_delay_alu instid0(VALU_DEP_3) | instskip(SKIP_1) | instid1(VALU_DEP_4)
	v_mul_lo_u32 v24, s17, v13
	v_mad_co_u64_u32 v[15:16], null, s16, v13, 0
	v_mul_lo_u32 v25, s16, v14
	v_mul_lo_u32 v27, s14, v4
	v_mad_co_u64_u32 v[17:18], null, s14, v3, 0
	v_mov_b32_e32 v10, v22
	v_alignbit_b32 v23, v8, v7, 1
	v_lshrrev_b32_e32 v22, 1, v8
	s_mul_u64 s[4:5], s[34:35], s[10:11]
	v_add3_u32 v16, v16, v25, v24
	v_mad_co_u64_u32 v[9:10], null, s13, v9, v[10:11]
	v_mul_lo_u32 v28, v23, s21
	v_add3_u32 v18, v18, v27, v26
	v_mad_co_u64_u32 v[23:24], null, v23, s20, 0
	v_mul_lo_u32 v10, v22, s20
	v_lshlrev_b64_e32 v[15:16], 2, v[15:16]
	s_delay_alu instid0(VALU_DEP_4)
	v_lshlrev_b64_e32 v[25:26], 2, v[17:18]
	v_mov_b32_e32 v22, v9
	s_wait_alu 0xfffe
	s_lshl_b64 s[2:3], s[4:5], 2
	s_wait_alu 0xfffe
	v_add_co_u32 v17, vcc_lo, v29, s2
	v_add3_u32 v24, v24, v28, v10
	v_lshlrev_b64_e32 v[9:10], 2, v[21:22]
	s_wait_alu 0xfffd
	v_add_co_ci_u32_e64 v18, null, s3, v30, vcc_lo
	v_add_co_u32 v25, vcc_lo, v15, v25
	s_wait_alu 0xfffd
	v_add_co_ci_u32_e64 v26, null, v16, v26, vcc_lo
	v_lshlrev_b64_e32 v[21:22], 2, v[23:24]
	s_delay_alu instid0(VALU_DEP_3) | instskip(SKIP_1) | instid1(VALU_DEP_3)
	v_add_co_u32 v23, vcc_lo, v25, v9
	s_wait_alu 0xfffd
	v_add_co_ci_u32_e64 v24, null, v26, v10, vcc_lo
	s_mul_u64 s[2:3], s[16:17], s[22:23]
	v_add_co_u32 v21, vcc_lo, v31, v21
	s_wait_alu 0xfffd
	v_add_co_ci_u32_e64 v22, null, v32, v22, vcc_lo
	v_add_co_u32 v23, vcc_lo, s24, v23
	s_wait_alu 0xfffd
	v_add_co_ci_u32_e64 v24, null, s25, v24, vcc_lo
	v_sub_co_u32 v25, vcc_lo, v5, v0
	s_wait_alu 0xfffd
	v_subrev_co_ci_u32_e64 v26, null, 0, v6, vcc_lo
	s_wait_alu 0xfffe
	s_lshl_b64 s[2:3], s[2:3], 2
	v_add_co_u32 v27, vcc_lo, v25, -1
	s_wait_alu 0xfffd
	v_add_co_ci_u32_e64 v28, null, -1, v26, vcc_lo
	s_wait_alu 0xfffe
	s_sub_nc_u64 s[8:9], 0, s[2:3]
	s_mov_b64 s[2:3], s[30:31]
	s_branch .LBB15_8
.LBB15_7:                               ;   in Loop: Header=BB15_8 Depth=1
	s_wait_alu 0xfffe
	s_or_b32 exec_lo, exec_lo, s4
	s_sub_nc_u64 s[2:3], s[2:3], s[22:23]
	v_add_co_u32 v23, vcc_lo, v23, s8
	s_wait_alu 0xfffe
	v_cmp_lt_i64_e64 s4, s[2:3], 0
	s_wait_alu 0xfffd
	v_add_co_ci_u32_e64 v24, null, s9, v24, vcc_lo
	s_and_b32 vcc_lo, exec_lo, s4
	s_wait_alu 0xfffe
	s_cbranch_vccnz .LBB15_16
.LBB15_8:                               ; =>This Inner Loop Header: Depth=1
	s_mov_b32 s4, exec_lo
                                        ; implicit-def: $vgpr33
	s_wait_alu 0xfffe
	v_cmpx_ne_u64_e64 s[2:3], v[25:26]
	s_xor_b32 s4, exec_lo, s4
	s_cbranch_execz .LBB15_12
; %bb.9:                                ;   in Loop: Header=BB15_8 Depth=1
	s_wait_loadcnt 0x0
	v_mov_b32_e32 v33, 0xff800000
	s_mov_b32 s5, exec_lo
	v_cmpx_eq_u64_e64 s[2:3], v[27:28]
	s_cbranch_execz .LBB15_11
; %bb.10:                               ;   in Loop: Header=BB15_8 Depth=1
	global_load_b32 v33, v[21:22], off
	s_wait_loadcnt 0x0
	v_ashrrev_i32_e32 v35, 31, v33
	v_mul_lo_u32 v36, s11, v33
	v_mad_co_u64_u32 v[33:34], null, s10, v33, 0
	s_delay_alu instid0(VALU_DEP_3) | instskip(NEXT) | instid1(VALU_DEP_1)
	v_mul_lo_u32 v35, s10, v35
	v_add3_u32 v34, v34, v35, v36
	s_delay_alu instid0(VALU_DEP_1) | instskip(NEXT) | instid1(VALU_DEP_1)
	v_lshlrev_b64_e32 v[33:34], 2, v[33:34]
	v_add_co_u32 v33, vcc_lo, v29, v33
	s_wait_alu 0xfffd
	s_delay_alu instid0(VALU_DEP_2)
	v_add_co_ci_u32_e64 v34, null, v30, v34, vcc_lo
	global_load_b32 v33, v[33:34], off
.LBB15_11:                              ;   in Loop: Header=BB15_8 Depth=1
	s_wait_alu 0xfffe
	s_or_b32 exec_lo, exec_lo, s5
.LBB15_12:                              ;   in Loop: Header=BB15_8 Depth=1
	s_wait_alu 0xfffe
	s_and_not1_saveexec_b32 s4, s4
	s_cbranch_execz .LBB15_14
; %bb.13:                               ;   in Loop: Header=BB15_8 Depth=1
	s_wait_loadcnt 0x0
	global_load_b32 v33, v[17:18], off
.LBB15_14:                              ;   in Loop: Header=BB15_8 Depth=1
	s_wait_alu 0xfffe
	s_or_b32 exec_lo, exec_lo, s4
	v_add_co_u32 v34, s4, v0, s2
	s_wait_alu 0xf1ff
	v_add_co_ci_u32_e64 v35, null, 0, s3, s4
	s_mov_b32 s4, exec_lo
	v_cmpx_ge_i64_e64 s[28:29], v[34:35]
	s_cbranch_execz .LBB15_7
; %bb.15:                               ;   in Loop: Header=BB15_8 Depth=1
	s_wait_loadcnt 0x0
	global_store_b32 v[23:24], v33, off
	s_branch .LBB15_7
.LBB15_16:
	s_load_b64 s[2:3], s[0:1], 0x18
	v_add_co_u32 v17, vcc_lo, v13, 2
	s_wait_alu 0xfffd
	v_add_co_ci_u32_e64 v18, null, 0, v14, vcc_lo
	v_lshlrev_b64_e32 v[13:14], 2, v[13:14]
	s_delay_alu instid0(VALU_DEP_3) | instskip(SKIP_1) | instid1(VALU_DEP_3)
	v_mul_lo_u32 v21, s17, v17
	s_lshl_b64 s[4:5], s[14:15], 2
	v_mul_lo_u32 v22, s16, v18
	v_mad_co_u64_u32 v[17:18], null, s16, v17, 0
	s_wait_alu 0xfffe
	s_sub_nc_u64 s[12:13], 0, s[4:5]
	v_add_co_u32 v13, vcc_lo, v13, 4
	s_wait_alu 0xfffd
	v_add_co_ci_u32_e64 v14, null, 0, v14, vcc_lo
	v_cmp_lt_i64_e64 s0, 0, v[11:12]
	s_delay_alu instid0(VALU_DEP_4)
	v_add3_u32 v18, v18, v22, v21
	v_cmp_ne_u64_e64 s1, 0, v[11:12]
	v_mul_lo_u32 v24, s17, v13
	s_wait_kmcnt 0x0
	s_add_nc_u64 s[4:5], s[2:3], -1
	s_add_nc_u64 s[18:19], s[2:3], -2
	s_wait_alu 0xfffe
	s_mul_u64 s[4:5], s[14:15], s[4:5]
	s_mul_u64 s[14:15], s[14:15], s[18:19]
	s_wait_alu 0xfffe
	s_lshl_b64 s[4:5], s[4:5], 2
	s_lshl_b64 s[14:15], s[14:15], 2
	s_wait_alu 0xfffe
	s_add_nc_u64 s[4:5], s[24:25], s[4:5]
	v_lshlrev_b64_e32 v[17:18], 2, v[17:18]
	s_add_nc_u64 s[14:15], s[24:25], s[14:15]
	s_wait_alu 0xfffe
	v_mad_co_u64_u32 v[11:12], null, s16, v13, s[4:5]
	v_add_co_u32 v13, vcc_lo, s14, v15
	v_mul_lo_u32 v23, s16, v14
	s_wait_alu 0xfffd
	v_add_co_ci_u32_e64 v14, null, s15, v16, vcc_lo
	s_mul_u64 s[14:15], s[6:7], s[18:19]
	v_add_co_u32 v15, vcc_lo, s4, v15
	s_wait_alu 0xfffd
	v_add_co_ci_u32_e64 v16, null, s5, v16, vcc_lo
	s_wait_alu 0xfffe
	s_lshl_b64 s[14:15], s[14:15], 2
	v_add_co_u32 v17, vcc_lo, s4, v17
	s_wait_alu 0xfffd
	v_add_co_ci_u32_e64 v18, null, s5, v18, vcc_lo
	s_wait_alu 0xfffe
	s_add_nc_u64 s[4:5], s[26:27], s[14:15]
	v_add3_u32 v12, v24, v12, v23
	s_wait_alu 0xfffe
	v_add_co_u32 v19, vcc_lo, s4, v19
	s_wait_alu 0xfffd
	v_add_co_ci_u32_e64 v20, null, s5, v20, vcc_lo
	v_cmp_gt_i64_e64 s5, s[2:3], 1
	s_lshl_b64 s[2:3], s[6:7], 2
	s_lshl_b64 s[6:7], s[10:11], 2
	s_wait_alu 0xfffe
	s_sub_nc_u64 s[10:11], 0, s[2:3]
	s_branch .LBB15_18
.LBB15_17:                              ;   in Loop: Header=BB15_18 Depth=1
	v_add_co_u32 v13, vcc_lo, v13, s8
	s_wait_alu 0xfffd
	v_add_co_ci_u32_e64 v14, null, s9, v14, vcc_lo
	v_add_co_u32 v11, vcc_lo, v11, s8
	s_sub_nc_u64 s[30:31], s[30:31], s[22:23]
	s_wait_alu 0xfffd
	v_add_co_ci_u32_e64 v12, null, s9, v12, vcc_lo
	v_add_co_u32 v15, vcc_lo, v15, s8
	s_wait_alu 0xfffe
	v_cmp_lt_i64_e64 s2, s[30:31], 0
	s_wait_alu 0xfffd
	v_add_co_ci_u32_e64 v16, null, s9, v16, vcc_lo
	v_add_co_u32 v17, vcc_lo, v17, s8
	s_wait_alu 0xfffd
	v_add_co_ci_u32_e64 v18, null, s9, v18, vcc_lo
	s_and_b32 vcc_lo, exec_lo, s2
	s_wait_alu 0xfffe
	s_cbranch_vccnz .LBB15_43
.LBB15_18:                              ; =>This Loop Header: Depth=1
                                        ;     Child Loop BB15_29 Depth 2
	v_add_co_u32 v23, s2, s30, v0
	s_wait_alu 0xf1ff
	v_add_co_ci_u32_e64 v24, null, s31, 0, s2
	v_dual_mov_b32 v25, s34 :: v_dual_mov_b32 v26, s35
	s_mov_b32 s16, 0
	s_delay_alu instid0(VALU_DEP_2)
	v_cmp_le_i64_e64 s3, v[23:24], v[5:6]
	s_and_b32 s2, s0, s3
	s_wait_alu 0xfffe
	s_and_saveexec_b32 s4, s2
	s_cbranch_execz .LBB15_26
; %bb.19:                               ;   in Loop: Header=BB15_18 Depth=1
	v_and_b32_e32 v21, 1, v23
	v_dual_mov_b32 v25, s34 :: v_dual_mov_b32 v26, s35
	s_delay_alu instid0(VALU_DEP_2)
	v_cmp_eq_u32_e32 vcc_lo, 1, v21
	s_and_saveexec_b32 s14, vcc_lo
	s_cbranch_execz .LBB15_21
; %bb.20:                               ;   in Loop: Header=BB15_18 Depth=1
	v_alignbit_b32 v21, v24, v23, 1
	v_lshrrev_b32_e32 v25, 1, v24
	s_delay_alu instid0(VALU_DEP_2) | instskip(SKIP_1) | instid1(VALU_DEP_3)
	v_mul_lo_u32 v26, v21, s21
	v_mad_co_u64_u32 v[21:22], null, v21, s20, 0
	v_mul_lo_u32 v25, v25, s20
	s_delay_alu instid0(VALU_DEP_1) | instskip(NEXT) | instid1(VALU_DEP_1)
	v_add3_u32 v22, v22, v26, v25
	v_lshlrev_b64_e32 v[21:22], 2, v[21:22]
	s_delay_alu instid0(VALU_DEP_1) | instskip(SKIP_1) | instid1(VALU_DEP_2)
	v_add_co_u32 v21, s2, v31, v21
	s_wait_alu 0xf1ff
	v_add_co_ci_u32_e64 v22, null, v32, v22, s2
	global_load_b32 v25, v[21:22], off
	s_wait_loadcnt 0x0
	v_ashrrev_i32_e32 v26, 31, v25
.LBB15_21:                              ;   in Loop: Header=BB15_18 Depth=1
	s_wait_alu 0xfffe
	s_or_b32 exec_lo, exec_lo, s14
	s_mov_b32 s15, 0
	s_mov_b32 s14, exec_lo
	v_cmpx_lt_i64_e64 v[23:24], v[7:8]
	s_cbranch_execz .LBB15_25
; %bb.22:                               ;   in Loop: Header=BB15_18 Depth=1
	v_dual_mov_b32 v21, s34 :: v_dual_mov_b32 v22, s35
	s_and_saveexec_b32 s2, vcc_lo
	s_cbranch_execz .LBB15_24
; %bb.23:                               ;   in Loop: Header=BB15_18 Depth=1
	v_add_co_u32 v21, vcc_lo, v23, 2
	s_wait_alu 0xfffd
	v_add_co_ci_u32_e64 v22, null, 0, v24, vcc_lo
	s_delay_alu instid0(VALU_DEP_1) | instskip(SKIP_1) | instid1(VALU_DEP_2)
	v_alignbit_b32 v21, v22, v21, 1
	v_lshrrev_b32_e32 v27, 1, v22
	v_mul_lo_u32 v28, v21, s21
	v_mad_co_u64_u32 v[21:22], null, v21, s20, 0
	s_delay_alu instid0(VALU_DEP_3) | instskip(NEXT) | instid1(VALU_DEP_1)
	v_mul_lo_u32 v27, v27, s20
	v_add3_u32 v22, v22, v28, v27
	s_delay_alu instid0(VALU_DEP_1) | instskip(NEXT) | instid1(VALU_DEP_1)
	v_lshlrev_b64_e32 v[21:22], 2, v[21:22]
	v_add_co_u32 v21, vcc_lo, v31, v21
	s_wait_alu 0xfffd
	s_delay_alu instid0(VALU_DEP_2)
	v_add_co_ci_u32_e64 v22, null, v32, v22, vcc_lo
	global_load_b32 v21, v[21:22], off
	s_wait_loadcnt 0x0
	v_ashrrev_i32_e32 v22, 31, v21
.LBB15_24:                              ;   in Loop: Header=BB15_18 Depth=1
	s_wait_alu 0xfffe
	s_or_b32 exec_lo, exec_lo, s2
	s_delay_alu instid0(VALU_DEP_1)
	v_cmp_ne_u64_e32 vcc_lo, v[21:22], v[25:26]
	s_and_b32 s15, vcc_lo, exec_lo
.LBB15_25:                              ;   in Loop: Header=BB15_18 Depth=1
	s_wait_alu 0xfffe
	s_or_b32 exec_lo, exec_lo, s14
	s_delay_alu instid0(SALU_CYCLE_1)
	s_and_b32 s16, s15, exec_lo
.LBB15_26:                              ;   in Loop: Header=BB15_18 Depth=1
	s_wait_alu 0xfffe
	s_or_b32 exec_lo, exec_lo, s4
	s_delay_alu instid0(SALU_CYCLE_1)
	s_and_not1_b32 vcc_lo, exec_lo, s5
	s_wait_alu 0xfffe
	s_cbranch_vccnz .LBB15_17
; %bb.27:                               ;   in Loop: Header=BB15_18 Depth=1
	v_mad_co_u64_u32 v[21:22], null, s6, v25, v[19:20]
	v_mul_lo_u32 v26, s6, v26
	v_mul_lo_u32 v25, s7, v25
	v_cmp_gt_i64_e64 s4, 1, v[23:24]
	v_cmp_lt_i64_e64 s2, v[23:24], v[5:6]
	v_cmp_lt_i64_e32 vcc_lo, s[28:29], v[23:24]
	v_dual_mov_b32 v24, v18 :: v_dual_mov_b32 v23, v17
	v_dual_mov_b32 v28, v12 :: v_dual_mov_b32 v27, v11
	v_add3_u32 v22, v25, v22, v26
	v_dual_mov_b32 v26, v16 :: v_dual_mov_b32 v25, v15
	v_dual_mov_b32 v30, v14 :: v_dual_mov_b32 v29, v13
	s_or_b32 s4, s1, s4
	s_xor_b32 s24, s3, -1
	s_wait_alu 0xfffe
	s_and_b32 s17, s4, s3
	s_mov_b64 s[14:15], s[18:19]
	s_branch .LBB15_29
.LBB15_28:                              ;   in Loop: Header=BB15_29 Depth=2
	s_wait_alu 0xfffe
	s_or_b32 exec_lo, exec_lo, s4
	v_add_co_u32 v29, s3, v29, s12
	s_wait_alu 0xf1ff
	v_add_co_ci_u32_e64 v30, null, s13, v30, s3
	v_add_co_u32 v27, s3, v27, s12
	s_wait_alu 0xf1ff
	v_add_co_ci_u32_e64 v28, null, s13, v28, s3
	;; [unrolled: 3-line block ×5, first 2 shown]
	s_add_nc_u64 s[14:15], s[14:15], -1
	s_wait_alu 0xfffe
	s_cmp_eq_u64 s[14:15], -1
	s_cbranch_scc1 .LBB15_17
.LBB15_29:                              ;   Parent Loop BB15_18 Depth=1
                                        ; =>  This Inner Loop Header: Depth=2
	s_wait_alu 0xfffe
	v_cmp_ge_i64_e64 s3, s[14:15], v[3:4]
	s_mov_b32 s25, 0
	s_wait_loadcnt 0x0
	s_wait_storecnt 0x0
	s_barrier_signal -1
	s_barrier_wait -1
	global_inv scope:SCOPE_SE
	s_or_b32 s3, s24, s3
	s_wait_alu 0xfffe
	s_and_saveexec_b32 s4, s3
	s_wait_alu 0xfffe
	s_xor_b32 s4, exec_lo, s4
	s_cbranch_execnz .LBB15_32
; %bb.30:                               ;   in Loop: Header=BB15_29 Depth=2
	s_wait_alu 0xfffe
	s_or_saveexec_b32 s26, s4
	v_mov_b32_e32 v33, 0xff800000
	s_wait_alu 0xfffe
	s_xor_b32 exec_lo, exec_lo, s26
	s_cbranch_execnz .LBB15_33
.LBB15_31:                              ;   in Loop: Header=BB15_29 Depth=2
	s_or_b32 exec_lo, exec_lo, s26
	s_and_saveexec_b32 s4, s25
	s_cbranch_execz .LBB15_28
	s_branch .LBB15_42
.LBB15_32:                              ;   in Loop: Header=BB15_29 Depth=2
	v_cmp_lt_i64_e64 s3, s[14:15], v[1:2]
	s_and_b32 s3, s3, s17
	s_wait_alu 0xfffe
	s_nor_b32 s3, vcc_lo, s3
	s_wait_alu 0xfffe
	s_and_b32 s25, s3, exec_lo
	s_or_saveexec_b32 s26, s4
	v_mov_b32_e32 v33, 0xff800000
	s_wait_alu 0xfffe
	s_xor_b32 exec_lo, exec_lo, s26
	s_cbranch_execz .LBB15_31
.LBB15_33:                              ;   in Loop: Header=BB15_29 Depth=2
	v_add_co_u32 v33, s3, v25, v9
	s_wait_alu 0xf1ff
	v_add_co_ci_u32_e64 v34, null, v26, v10, s3
	v_mov_b32_e32 v35, 0xff800000
	global_load_b32 v33, v[33:34], off
	v_mov_b32_e32 v34, 0xff800000
	s_wait_loadcnt 0x0
	v_mov_b32_e32 v36, v33
	s_and_saveexec_b32 s4, s2
	s_cbranch_execz .LBB15_37
; %bb.34:                               ;   in Loop: Header=BB15_29 Depth=2
	v_add_co_u32 v35, s3, v27, v9
	s_wait_alu 0xf1ff
	v_add_co_ci_u32_e64 v36, null, v28, v10, s3
	s_mov_b32 s27, exec_lo
	global_load_b32 v35, v[35:36], off
	v_mov_b32_e32 v36, v33
	s_wait_loadcnt 0x0
	v_cmpx_gt_f32_e32 v35, v33
; %bb.35:                               ;   in Loop: Header=BB15_29 Depth=2
	v_mov_b32_e32 v36, v35
; %bb.36:                               ;   in Loop: Header=BB15_29 Depth=2
	s_wait_alu 0xfffe
	s_or_b32 exec_lo, exec_lo, s27
.LBB15_37:                              ;   in Loop: Header=BB15_29 Depth=2
	s_wait_alu 0xfffe
	s_or_b32 exec_lo, exec_lo, s4
	s_and_saveexec_b32 s4, s16
	s_cbranch_execz .LBB15_41
; %bb.38:                               ;   in Loop: Header=BB15_29 Depth=2
	v_add_co_u32 v37, s3, v23, v9
	s_wait_alu 0xf1ff
	v_add_co_ci_u32_e64 v38, null, v24, v10, s3
	s_mov_b32 s27, exec_lo
	global_load_b32 v34, v[37:38], off
	s_wait_loadcnt 0x0
	v_cmpx_gt_f32_e32 v34, v36
; %bb.39:                               ;   in Loop: Header=BB15_29 Depth=2
	v_mov_b32_e32 v36, v34
; %bb.40:                               ;   in Loop: Header=BB15_29 Depth=2
	s_wait_alu 0xfffe
	s_or_b32 exec_lo, exec_lo, s27
.LBB15_41:                              ;   in Loop: Header=BB15_29 Depth=2
	s_wait_alu 0xfffe
	s_or_b32 exec_lo, exec_lo, s4
	global_load_b32 v37, v[21:22], off
	v_cmp_neq_f32_e64 s3, 0xff800000, v36
	s_or_b32 s25, s25, exec_lo
	v_cndmask_b32_e64 v36, 0, v36, s3
	s_delay_alu instid0(VALU_DEP_1) | instskip(NEXT) | instid1(VALU_DEP_1)
	v_sub_f32_e32 v34, v34, v36
	v_dual_sub_f32 v33, v33, v36 :: v_dual_mul_f32 v44, 0x3fb8aa3b, v34
	s_delay_alu instid0(VALU_DEP_1) | instskip(SKIP_1) | instid1(VALU_DEP_3)
	v_dual_sub_f32 v35, v35, v36 :: v_dual_mul_f32 v38, 0x3fb8aa3b, v33
	v_cmp_ngt_f32_e64 s3, 0xc2ce8ed0, v33
	v_rndne_f32_e32 v46, v44
	s_delay_alu instid0(VALU_DEP_3) | instskip(NEXT) | instid1(VALU_DEP_4)
	v_rndne_f32_e32 v41, v38
	v_mul_f32_e32 v39, 0x3fb8aa3b, v35
	v_fma_f32 v40, 0x3fb8aa3b, v33, -v38
	s_delay_alu instid0(VALU_DEP_3) | instskip(NEXT) | instid1(VALU_DEP_3)
	v_sub_f32_e32 v38, v38, v41
	v_rndne_f32_e32 v43, v39
	v_fma_f32 v42, 0x3fb8aa3b, v35, -v39
	v_cvt_i32_f32_e32 v41, v41
	s_delay_alu instid0(VALU_DEP_3) | instskip(SKIP_1) | instid1(VALU_DEP_1)
	v_sub_f32_e32 v39, v39, v43
	v_fma_f32 v45, 0x3fb8aa3b, v34, -v44
	v_dual_fmac_f32 v42, 0x32a5705f, v35 :: v_dual_fmac_f32 v45, 0x32a5705f, v34
	s_delay_alu instid0(VALU_DEP_1) | instskip(SKIP_1) | instid1(VALU_DEP_2)
	v_dual_fmac_f32 v40, 0x32a5705f, v33 :: v_dual_add_f32 v39, v39, v42
	v_cvt_i32_f32_e32 v42, v43
	v_add_f32_e32 v38, v38, v40
	s_delay_alu instid0(VALU_DEP_3) | instskip(NEXT) | instid1(VALU_DEP_1)
	v_exp_f32_e32 v39, v39
	v_exp_f32_e32 v38, v38
	s_delay_alu instid0(TRANS32_DEP_2) | instskip(NEXT) | instid1(TRANS32_DEP_1)
	v_ldexp_f32 v39, v39, v42
	v_ldexp_f32 v38, v38, v41
	v_cvt_i32_f32_e32 v41, v46
	s_wait_alu 0xf1ff
	s_delay_alu instid0(VALU_DEP_2) | instskip(SKIP_2) | instid1(VALU_DEP_1)
	v_cndmask_b32_e64 v38, 0, v38, s3
	v_cmp_ngt_f32_e64 s3, 0xc2ce8ed0, v35
	s_wait_alu 0xf1ff
	v_cndmask_b32_e64 v39, 0, v39, s3
	v_cmp_nlt_f32_e64 s3, 0x42b17218, v33
	s_wait_alu 0xf1ff
	s_delay_alu instid0(VALU_DEP_1) | instskip(SKIP_2) | instid1(VALU_DEP_1)
	v_cndmask_b32_e64 v33, 0x7f800000, v38, s3
	v_cmp_nlt_f32_e64 s3, 0x42b17218, v35
	s_wait_alu 0xf1ff
	v_cndmask_b32_e64 v35, 0x7f800000, v39, s3
	v_cmp_ngt_f32_e64 s3, 0xc2ce8ed0, v34
	s_delay_alu instid0(VALU_DEP_2) | instskip(NEXT) | instid1(VALU_DEP_1)
	v_dual_add_f32 v33, v33, v35 :: v_dual_sub_f32 v40, v44, v46
	v_add_f32_e32 v40, v40, v45
	s_delay_alu instid0(VALU_DEP_1) | instskip(NEXT) | instid1(TRANS32_DEP_1)
	v_exp_f32_e32 v40, v40
	v_ldexp_f32 v40, v40, v41
	s_wait_alu 0xf1ff
	s_delay_alu instid0(VALU_DEP_1) | instskip(SKIP_2) | instid1(VALU_DEP_1)
	v_cndmask_b32_e64 v38, 0, v40, s3
	v_cmp_nlt_f32_e64 s3, 0x42b17218, v34
	s_wait_alu 0xf1ff
	v_cndmask_b32_e64 v34, 0x7f800000, v38, s3
	s_delay_alu instid0(VALU_DEP_1) | instskip(NEXT) | instid1(VALU_DEP_1)
	v_add_f32_e32 v33, v34, v33
	v_cmp_gt_f32_e64 s3, 0x800000, v33
	s_wait_alu 0xf1ff
	s_delay_alu instid0(VALU_DEP_1) | instskip(NEXT) | instid1(VALU_DEP_1)
	v_cndmask_b32_e64 v34, 0, 32, s3
	v_ldexp_f32 v33, v33, v34
	s_delay_alu instid0(VALU_DEP_1) | instskip(NEXT) | instid1(TRANS32_DEP_1)
	v_log_f32_e32 v33, v33
	v_mul_f32_e32 v34, 0x3f317217, v33
	v_cmp_gt_f32_e64 s4, 0x7f800000, |v33|
	s_delay_alu instid0(VALU_DEP_2) | instskip(NEXT) | instid1(VALU_DEP_1)
	v_fma_f32 v34, 0x3f317217, v33, -v34
	v_fmac_f32_e32 v34, 0x3377d1cf, v33
	s_delay_alu instid0(VALU_DEP_1) | instskip(SKIP_1) | instid1(VALU_DEP_1)
	v_fmac_f32_e32 v34, 0x3f317217, v33
	s_wait_alu 0xf1ff
	v_cndmask_b32_e64 v33, v33, v34, s4
	v_cndmask_b32_e64 v34, 0, 0x41b17218, s3
	s_delay_alu instid0(VALU_DEP_1) | instskip(NEXT) | instid1(VALU_DEP_1)
	v_sub_f32_e32 v33, v33, v34
	v_add_f32_e32 v33, v36, v33
	s_wait_loadcnt 0x0
	s_delay_alu instid0(VALU_DEP_1)
	v_add_f32_e32 v33, v37, v33
	s_or_b32 exec_lo, exec_lo, s26
	s_wait_alu 0xfffe
	s_and_saveexec_b32 s4, s25
	s_cbranch_execz .LBB15_28
.LBB15_42:                              ;   in Loop: Header=BB15_29 Depth=2
	v_add_co_u32 v34, s3, v29, v9
	s_wait_alu 0xf1ff
	v_add_co_ci_u32_e64 v35, null, v30, v10, s3
	global_store_b32 v[34:35], v33, off
	s_branch .LBB15_28
.LBB15_43:
	s_endpgm
.LBB15_44:
                                        ; implicit-def: $sgpr2_sgpr3
	s_branch .LBB15_4
	.section	.rodata,"a",@progbits
	.p2align	6, 0x0
	.amdhsa_kernel _ZN2at6native12_GLOBAL__N_137ctc_loss_backward_log_beta_gpu_kernelIfiEEvPT_PKS3_PKllPKT0_S8_lllllllS8_lll
		.amdhsa_group_segment_fixed_size 0
		.amdhsa_private_segment_fixed_size 0
		.amdhsa_kernarg_size 392
		.amdhsa_user_sgpr_count 2
		.amdhsa_user_sgpr_dispatch_ptr 0
		.amdhsa_user_sgpr_queue_ptr 0
		.amdhsa_user_sgpr_kernarg_segment_ptr 1
		.amdhsa_user_sgpr_dispatch_id 0
		.amdhsa_user_sgpr_private_segment_size 0
		.amdhsa_wavefront_size32 1
		.amdhsa_uses_dynamic_stack 0
		.amdhsa_enable_private_segment 0
		.amdhsa_system_sgpr_workgroup_id_x 1
		.amdhsa_system_sgpr_workgroup_id_y 1
		.amdhsa_system_sgpr_workgroup_id_z 0
		.amdhsa_system_sgpr_workgroup_info 0
		.amdhsa_system_vgpr_workitem_id 1
		.amdhsa_next_free_vgpr 47
		.amdhsa_next_free_sgpr 36
		.amdhsa_reserve_vcc 1
		.amdhsa_float_round_mode_32 0
		.amdhsa_float_round_mode_16_64 0
		.amdhsa_float_denorm_mode_32 3
		.amdhsa_float_denorm_mode_16_64 3
		.amdhsa_fp16_overflow 0
		.amdhsa_workgroup_processor_mode 1
		.amdhsa_memory_ordered 1
		.amdhsa_forward_progress 1
		.amdhsa_inst_pref_size 32
		.amdhsa_round_robin_scheduling 0
		.amdhsa_exception_fp_ieee_invalid_op 0
		.amdhsa_exception_fp_denorm_src 0
		.amdhsa_exception_fp_ieee_div_zero 0
		.amdhsa_exception_fp_ieee_overflow 0
		.amdhsa_exception_fp_ieee_underflow 0
		.amdhsa_exception_fp_ieee_inexact 0
		.amdhsa_exception_int_div_zero 0
	.end_amdhsa_kernel
	.section	.text._ZN2at6native12_GLOBAL__N_137ctc_loss_backward_log_beta_gpu_kernelIfiEEvPT_PKS3_PKllPKT0_S8_lllllllS8_lll,"axG",@progbits,_ZN2at6native12_GLOBAL__N_137ctc_loss_backward_log_beta_gpu_kernelIfiEEvPT_PKS3_PKllPKT0_S8_lllllllS8_lll,comdat
.Lfunc_end15:
	.size	_ZN2at6native12_GLOBAL__N_137ctc_loss_backward_log_beta_gpu_kernelIfiEEvPT_PKS3_PKllPKT0_S8_lllllllS8_lll, .Lfunc_end15-_ZN2at6native12_GLOBAL__N_137ctc_loss_backward_log_beta_gpu_kernelIfiEEvPT_PKS3_PKllPKT0_S8_lllllllS8_lll
                                        ; -- End function
	.set _ZN2at6native12_GLOBAL__N_137ctc_loss_backward_log_beta_gpu_kernelIfiEEvPT_PKS3_PKllPKT0_S8_lllllllS8_lll.num_vgpr, 47
	.set _ZN2at6native12_GLOBAL__N_137ctc_loss_backward_log_beta_gpu_kernelIfiEEvPT_PKS3_PKllPKT0_S8_lllllllS8_lll.num_agpr, 0
	.set _ZN2at6native12_GLOBAL__N_137ctc_loss_backward_log_beta_gpu_kernelIfiEEvPT_PKS3_PKllPKT0_S8_lllllllS8_lll.numbered_sgpr, 36
	.set _ZN2at6native12_GLOBAL__N_137ctc_loss_backward_log_beta_gpu_kernelIfiEEvPT_PKS3_PKllPKT0_S8_lllllllS8_lll.num_named_barrier, 0
	.set _ZN2at6native12_GLOBAL__N_137ctc_loss_backward_log_beta_gpu_kernelIfiEEvPT_PKS3_PKllPKT0_S8_lllllllS8_lll.private_seg_size, 0
	.set _ZN2at6native12_GLOBAL__N_137ctc_loss_backward_log_beta_gpu_kernelIfiEEvPT_PKS3_PKllPKT0_S8_lllllllS8_lll.uses_vcc, 1
	.set _ZN2at6native12_GLOBAL__N_137ctc_loss_backward_log_beta_gpu_kernelIfiEEvPT_PKS3_PKllPKT0_S8_lllllllS8_lll.uses_flat_scratch, 0
	.set _ZN2at6native12_GLOBAL__N_137ctc_loss_backward_log_beta_gpu_kernelIfiEEvPT_PKS3_PKllPKT0_S8_lllllllS8_lll.has_dyn_sized_stack, 0
	.set _ZN2at6native12_GLOBAL__N_137ctc_loss_backward_log_beta_gpu_kernelIfiEEvPT_PKS3_PKllPKT0_S8_lllllllS8_lll.has_recursion, 0
	.set _ZN2at6native12_GLOBAL__N_137ctc_loss_backward_log_beta_gpu_kernelIfiEEvPT_PKS3_PKllPKT0_S8_lllllllS8_lll.has_indirect_call, 0
	.section	.AMDGPU.csdata,"",@progbits
; Kernel info:
; codeLenInByte = 4060
; TotalNumSgprs: 38
; NumVgprs: 47
; ScratchSize: 0
; MemoryBound: 0
; FloatMode: 240
; IeeeMode: 1
; LDSByteSize: 0 bytes/workgroup (compile time only)
; SGPRBlocks: 0
; VGPRBlocks: 5
; NumSGPRsForWavesPerEU: 38
; NumVGPRsForWavesPerEU: 47
; Occupancy: 16
; WaveLimiterHint : 1
; COMPUTE_PGM_RSRC2:SCRATCH_EN: 0
; COMPUTE_PGM_RSRC2:USER_SGPR: 2
; COMPUTE_PGM_RSRC2:TRAP_HANDLER: 0
; COMPUTE_PGM_RSRC2:TGID_X_EN: 1
; COMPUTE_PGM_RSRC2:TGID_Y_EN: 1
; COMPUTE_PGM_RSRC2:TGID_Z_EN: 0
; COMPUTE_PGM_RSRC2:TIDIG_COMP_CNT: 1
	.section	.text._ZN2at6native12_GLOBAL__N_145ctc_loss_backward_collect_nonblank_gpu_kernelIfiEEvPT_PKS3_lS6_S6_S6_PKlPKT0_S8_S6_llllllllllllS8_llb,"axG",@progbits,_ZN2at6native12_GLOBAL__N_145ctc_loss_backward_collect_nonblank_gpu_kernelIfiEEvPT_PKS3_lS6_S6_S6_PKlPKT0_S8_S6_llllllllllllS8_llb,comdat
	.globl	_ZN2at6native12_GLOBAL__N_145ctc_loss_backward_collect_nonblank_gpu_kernelIfiEEvPT_PKS3_lS6_S6_S6_PKlPKT0_S8_S6_llllllllllllS8_llb ; -- Begin function _ZN2at6native12_GLOBAL__N_145ctc_loss_backward_collect_nonblank_gpu_kernelIfiEEvPT_PKS3_lS6_S6_S6_PKlPKT0_S8_S6_llllllllllllS8_llb
	.p2align	8
	.type	_ZN2at6native12_GLOBAL__N_145ctc_loss_backward_collect_nonblank_gpu_kernelIfiEEvPT_PKS3_lS6_S6_S6_PKlPKT0_S8_S6_llllllllllllS8_llb,@function
_ZN2at6native12_GLOBAL__N_145ctc_loss_backward_collect_nonblank_gpu_kernelIfiEEvPT_PKS3_lS6_S6_S6_PKlPKT0_S8_S6_llllllllllllS8_llb: ; @_ZN2at6native12_GLOBAL__N_145ctc_loss_backward_collect_nonblank_gpu_kernelIfiEEvPT_PKS3_lS6_S6_S6_PKlPKT0_S8_S6_llllllllllllS8_llb
; %bb.0:
	s_clause 0x1
	s_load_b32 s2, s[0:1], 0xdc
	s_load_b128 s[4:7], s[0:1], 0xb8
	v_bfe_u32 v1, v0, 10, 10
	s_wait_kmcnt 0x0
	s_lshr_b32 s3, s2, 16
	s_delay_alu instid0(VALU_DEP_1) | instid1(SALU_CYCLE_1)
	v_mad_co_u64_u32 v[2:3], null, ttmp7, s3, v[1:2]
	v_mov_b32_e32 v3, 0
	s_mov_b32 s3, exec_lo
	s_delay_alu instid0(VALU_DEP_1)
	v_cmpx_gt_i64_e64 s[6:7], v[2:3]
	s_cbranch_execz .LBB16_5
; %bb.1:
	s_load_b64 s[6:7], s[0:1], 0x40
	v_lshlrev_b64_e32 v[6:7], 3, v[2:3]
	v_dual_mov_b32 v1, v3 :: v_dual_and_b32 v0, 0x3ff, v0
	s_and_b32 s2, s2, 0xffff
	s_wait_kmcnt 0x0
	s_delay_alu instid0(VALU_DEP_2) | instskip(NEXT) | instid1(VALU_DEP_1)
	v_add_co_u32 v4, vcc_lo, s6, v6
	v_add_co_ci_u32_e64 v5, null, s7, v7, vcc_lo
	global_load_b64 v[8:9], v[4:5], off
	s_wait_alu 0xfffe
	v_mad_co_u64_u32 v[4:5], null, s2, ttmp9, v[0:1]
	s_wait_loadcnt 0x0
	s_delay_alu instid0(VALU_DEP_1)
	v_cmp_lt_i64_e32 vcc_lo, v[4:5], v[8:9]
	s_and_b32 exec_lo, exec_lo, vcc_lo
	s_cbranch_execz .LBB16_5
; %bb.2:
	s_clause 0x2
	s_load_b64 s[2:3], s[0:1], 0x48
	s_load_b32 s8, s[0:1], 0xc8
	s_load_b64 s[6:7], s[0:1], 0x30
	v_lshlrev_b64_e32 v[0:1], 2, v[2:3]
	s_wait_kmcnt 0x0
	s_delay_alu instid0(VALU_DEP_1) | instskip(SKIP_1) | instid1(VALU_DEP_2)
	v_add_co_u32 v0, vcc_lo, s2, v0
	s_wait_alu 0xfffd
	v_add_co_ci_u32_e64 v1, null, s3, v1, vcc_lo
	v_add_co_u32 v8, vcc_lo, s6, v6
	s_wait_alu 0xfffd
	v_add_co_ci_u32_e64 v9, null, s7, v7, vcc_lo
	global_load_b32 v10, v[0:1], off
	global_load_b64 v[0:1], v[8:9], off
	s_bitcmp1_b32 s8, 0
	s_cselect_b32 s3, -1, 0
	s_wait_alu 0xfffe
	s_xor_b32 s3, s3, -1
	s_wait_loadcnt 0x1
	v_cmp_neq_f32_e32 vcc_lo, 0x7f800000, v10
	s_wait_loadcnt 0x0
	v_cmp_lt_i64_e64 s2, 0, v[0:1]
	s_wait_alu 0xfffe
	s_or_b32 s3, s3, vcc_lo
	s_wait_alu 0xfffe
	s_and_b32 s2, s3, s2
	s_wait_alu 0xfffe
	s_and_b32 exec_lo, exec_lo, s2
	s_cbranch_execz .LBB16_5
; %bb.3:
	s_load_b64 s[2:3], s[0:1], 0xb0
	v_mul_lo_u32 v3, v5, s4
	v_mul_lo_u32 v11, v4, s5
	v_mad_co_u64_u32 v[8:9], null, v4, s4, 0
	s_load_b256 s[20:27], s[0:1], 0x0
	v_add3_u32 v9, v9, v11, v3
	s_delay_alu instid0(VALU_DEP_1)
	v_lshlrev_b64_e32 v[8:9], 2, v[8:9]
	s_wait_kmcnt 0x0
	v_add_co_u32 v6, vcc_lo, s2, v6
	s_wait_alu 0xfffd
	v_add_co_ci_u32_e64 v7, null, s3, v7, vcc_lo
	s_load_b64 s[2:3], s[0:1], 0x38
	global_load_b64 v[6:7], v[6:7], off
	s_wait_loadcnt 0x0
	v_lshlrev_b64_e32 v[6:7], 2, v[6:7]
	s_wait_kmcnt 0x0
	s_delay_alu instid0(VALU_DEP_1) | instskip(SKIP_1) | instid1(VALU_DEP_2)
	v_add_co_u32 v3, vcc_lo, s2, v6
	s_wait_alu 0xfffd
	v_add_co_ci_u32_e64 v7, null, s3, v7, vcc_lo
	s_delay_alu instid0(VALU_DEP_2) | instskip(SKIP_1) | instid1(VALU_DEP_2)
	v_add_co_u32 v6, vcc_lo, v3, v8
	s_wait_alu 0xfffd
	v_add_co_ci_u32_e64 v7, null, v7, v9, vcc_lo
	v_mad_co_u64_u32 v[8:9], null, s24, v2, 0
	global_load_b32 v23, v[6:7], off
	v_mov_b32_e32 v3, v9
	s_delay_alu instid0(VALU_DEP_1) | instskip(SKIP_1) | instid1(VALU_DEP_1)
	v_mad_co_u64_u32 v[6:7], null, s25, v2, v[3:4]
	v_lshlrev_b64_e32 v[3:4], 1, v[4:5]
	v_or_b32_e32 v3, 1, v3
	s_delay_alu instid0(VALU_DEP_3) | instskip(NEXT) | instid1(VALU_DEP_1)
	v_mov_b32_e32 v9, v6
	v_lshlrev_b64_e32 v[6:7], 2, v[8:9]
	s_delay_alu instid0(VALU_DEP_1) | instskip(SKIP_1) | instid1(VALU_DEP_2)
	v_add_co_u32 v6, vcc_lo, s22, v6
	s_wait_alu 0xfffd
	v_add_co_ci_u32_e64 v7, null, s23, v7, vcc_lo
	global_load_b32 v11, v[6:7], off
	s_clause 0x2
	s_load_b512 s[4:19], s[0:1], 0x50
	s_load_b256 s[36:43], s[0:1], 0x90
	s_load_b128 s[0:3], s[0:1], 0x20
	s_wait_kmcnt 0x0
	v_mad_co_u64_u32 v[12:13], null, s16, v2, 0
	v_mad_co_u64_u32 v[5:6], null, s6, v2, 0
	v_mad_co_u64_u32 v[7:8], null, s12, v2, 0
	v_mul_lo_u32 v18, v4, s36
	v_mul_lo_u32 v19, v3, s37
	v_mad_co_u64_u32 v[16:17], null, v3, s36, 0
	v_mad_co_u64_u32 v[14:15], null, s38, v2, 0
	v_mov_b32_e32 v9, v13
	v_mul_lo_u32 v24, v4, s42
	v_mul_lo_u32 v25, v3, s43
	v_mad_co_u64_u32 v[3:4], null, v3, s42, 0
	v_add3_u32 v17, v17, v19, v18
	v_mad_co_u64_u32 v[18:19], null, s7, v2, v[6:7]
	v_mad_co_u64_u32 v[19:20], null, s13, v2, v[8:9]
	v_mov_b32_e32 v13, v15
	v_mad_co_u64_u32 v[20:21], null, s17, v2, v[9:10]
	v_add3_u32 v4, v4, v25, v24
	v_mov_b32_e32 v6, v18
	s_delay_alu instid0(VALU_DEP_4) | instskip(SKIP_1) | instid1(VALU_DEP_4)
	v_mad_co_u64_u32 v[21:22], null, s39, v2, v[13:14]
	v_mov_b32_e32 v8, v19
	v_lshlrev_b64_e32 v[18:19], 2, v[3:4]
	v_mov_b32_e32 v13, v20
	v_lshlrev_b64_e32 v[2:3], 2, v[5:6]
	v_lshlrev_b64_e32 v[16:17], 2, v[16:17]
	;; [unrolled: 1-line block ×3, first 2 shown]
	v_mov_b32_e32 v15, v21
	v_lshlrev_b64_e32 v[4:5], 2, v[12:13]
	s_lshl_b64 s[6:7], s[40:41], 2
	s_lshl_b64 s[4:5], s[4:5], 2
	s_delay_alu instid0(VALU_DEP_2)
	v_lshlrev_b64_e32 v[12:13], 2, v[14:15]
	v_add_co_u32 v14, vcc_lo, s2, v7
	s_wait_alu 0xfffd
	v_add_co_ci_u32_e64 v15, null, s3, v8, vcc_lo
	v_add_co_u32 v20, vcc_lo, s20, v2
	s_wait_alu 0xfffd
	v_add_co_ci_u32_e64 v21, null, s21, v3, vcc_lo
	;; [unrolled: 3-line block ×5, first 2 shown]
	s_lshl_b64 s[2:3], s[18:19], 2
	s_mov_b32 s1, 0
	s_wait_loadcnt 0x1
	v_ashrrev_i32_e32 v8, 31, v23
	v_mul_lo_u32 v9, s15, v23
	v_mad_co_u64_u32 v[4:5], null, s14, v23, 0
	v_mul_lo_u32 v22, s9, v23
	s_delay_alu instid0(VALU_DEP_4) | instskip(SKIP_3) | instid1(VALU_DEP_3)
	v_mul_lo_u32 v24, s14, v8
	v_mad_co_u64_u32 v[6:7], null, s8, v23, 0
	v_mul_lo_u32 v8, s8, v8
	s_lshl_b64 s[8:9], s[10:11], 2
	v_add3_u32 v5, v5, v24, v9
	s_delay_alu instid0(VALU_DEP_2) | instskip(NEXT) | instid1(VALU_DEP_2)
	v_add3_u32 v7, v7, v8, v22
	v_lshlrev_b64_e32 v[8:9], 2, v[4:5]
	v_add_co_u32 v4, vcc_lo, v12, v18
	s_wait_alu 0xfffd
	v_add_co_ci_u32_e64 v5, null, v13, v19, vcc_lo
	v_lshlrev_b64_e32 v[12:13], 2, v[6:7]
	s_delay_alu instid0(VALU_DEP_4) | instskip(SKIP_2) | instid1(VALU_DEP_3)
	v_add_co_u32 v6, vcc_lo, v14, v8
	s_wait_alu 0xfffd
	v_add_co_ci_u32_e64 v7, null, v15, v9, vcc_lo
	v_add_co_u32 v8, vcc_lo, v20, v12
	s_wait_alu 0xfffd
	v_add_co_ci_u32_e64 v9, null, v21, v13, vcc_lo
.LBB16_4:                               ; =>This Inner Loop Header: Depth=1
	global_load_b32 v12, v[2:3], off
	global_load_b32 v13, v[4:5], off
	;; [unrolled: 1-line block ×3, first 2 shown]
	s_wait_loadcnt 0x1
	v_add_f32_e32 v12, v12, v13
	s_delay_alu instid0(VALU_DEP_1) | instskip(SKIP_1) | instid1(VALU_DEP_1)
	v_add_f32_e32 v12, v10, v12
	s_wait_loadcnt 0x0
	v_sub_f32_e32 v12, v12, v14
	s_delay_alu instid0(VALU_DEP_1) | instskip(SKIP_1) | instid1(VALU_DEP_2)
	v_mul_f32_e32 v13, 0x3fb8aa3b, v12
	v_cmp_ngt_f32_e32 vcc_lo, 0xc2ce8ed0, v12
	v_fma_f32 v14, 0x3fb8aa3b, v12, -v13
	v_rndne_f32_e32 v15, v13
	s_delay_alu instid0(VALU_DEP_1) | instskip(NEXT) | instid1(VALU_DEP_1)
	v_dual_fmac_f32 v14, 0x32a5705f, v12 :: v_dual_sub_f32 v13, v13, v15
	v_add_f32_e32 v13, v13, v14
	v_cvt_i32_f32_e32 v14, v15
	s_delay_alu instid0(VALU_DEP_2) | instskip(NEXT) | instid1(TRANS32_DEP_1)
	v_exp_f32_e32 v13, v13
	v_ldexp_f32 v13, v13, v14
	s_wait_alu 0xfffd
	s_delay_alu instid0(VALU_DEP_1) | instskip(SKIP_2) | instid1(VALU_DEP_2)
	v_cndmask_b32_e32 v13, 0, v13, vcc_lo
	v_cmp_nlt_f32_e32 vcc_lo, 0x42b17218, v12
	s_wait_alu 0xfffd
	v_cndmask_b32_e32 v12, 0x7f800000, v13, vcc_lo
	v_add_co_u32 v0, vcc_lo, v0, -1
	s_wait_alu 0xfffd
	v_add_co_ci_u32_e64 v1, null, -1, v1, vcc_lo
	s_delay_alu instid0(VALU_DEP_3)
	v_mul_f32_e64 v12, v11, -v12
	s_wait_alu 0xfffe
	v_add_co_u32 v4, vcc_lo, v4, s6
	s_wait_alu 0xfffd
	v_add_co_ci_u32_e64 v5, null, s7, v5, vcc_lo
	global_atomic_add_f32 v[8:9], v12, off scope:SCOPE_DEV
	v_add_co_u32 v2, vcc_lo, v2, s2
	s_wait_alu 0xfffd
	v_add_co_ci_u32_e64 v3, null, s3, v3, vcc_lo
	v_add_co_u32 v6, vcc_lo, v6, s8
	s_wait_alu 0xfffd
	v_add_co_ci_u32_e64 v7, null, s9, v7, vcc_lo
	v_cmp_eq_u64_e32 vcc_lo, 0, v[0:1]
	v_add_co_u32 v8, s0, v8, s4
	s_wait_alu 0xf1ff
	v_add_co_ci_u32_e64 v9, null, s5, v9, s0
	s_or_b32 s1, vcc_lo, s1
	s_wait_alu 0xfffe
	s_and_not1_b32 exec_lo, exec_lo, s1
	s_cbranch_execnz .LBB16_4
.LBB16_5:
	s_endpgm
	.section	.rodata,"a",@progbits
	.p2align	6, 0x0
	.amdhsa_kernel _ZN2at6native12_GLOBAL__N_145ctc_loss_backward_collect_nonblank_gpu_kernelIfiEEvPT_PKS3_lS6_S6_S6_PKlPKT0_S8_S6_llllllllllllS8_llb
		.amdhsa_group_segment_fixed_size 0
		.amdhsa_private_segment_fixed_size 0
		.amdhsa_kernarg_size 464
		.amdhsa_user_sgpr_count 2
		.amdhsa_user_sgpr_dispatch_ptr 0
		.amdhsa_user_sgpr_queue_ptr 0
		.amdhsa_user_sgpr_kernarg_segment_ptr 1
		.amdhsa_user_sgpr_dispatch_id 0
		.amdhsa_user_sgpr_private_segment_size 0
		.amdhsa_wavefront_size32 1
		.amdhsa_uses_dynamic_stack 0
		.amdhsa_enable_private_segment 0
		.amdhsa_system_sgpr_workgroup_id_x 1
		.amdhsa_system_sgpr_workgroup_id_y 1
		.amdhsa_system_sgpr_workgroup_id_z 0
		.amdhsa_system_sgpr_workgroup_info 0
		.amdhsa_system_vgpr_workitem_id 1
		.amdhsa_next_free_vgpr 26
		.amdhsa_next_free_sgpr 44
		.amdhsa_reserve_vcc 1
		.amdhsa_float_round_mode_32 0
		.amdhsa_float_round_mode_16_64 0
		.amdhsa_float_denorm_mode_32 3
		.amdhsa_float_denorm_mode_16_64 3
		.amdhsa_fp16_overflow 0
		.amdhsa_workgroup_processor_mode 1
		.amdhsa_memory_ordered 1
		.amdhsa_forward_progress 1
		.amdhsa_inst_pref_size 11
		.amdhsa_round_robin_scheduling 0
		.amdhsa_exception_fp_ieee_invalid_op 0
		.amdhsa_exception_fp_denorm_src 0
		.amdhsa_exception_fp_ieee_div_zero 0
		.amdhsa_exception_fp_ieee_overflow 0
		.amdhsa_exception_fp_ieee_underflow 0
		.amdhsa_exception_fp_ieee_inexact 0
		.amdhsa_exception_int_div_zero 0
	.end_amdhsa_kernel
	.section	.text._ZN2at6native12_GLOBAL__N_145ctc_loss_backward_collect_nonblank_gpu_kernelIfiEEvPT_PKS3_lS6_S6_S6_PKlPKT0_S8_S6_llllllllllllS8_llb,"axG",@progbits,_ZN2at6native12_GLOBAL__N_145ctc_loss_backward_collect_nonblank_gpu_kernelIfiEEvPT_PKS3_lS6_S6_S6_PKlPKT0_S8_S6_llllllllllllS8_llb,comdat
.Lfunc_end16:
	.size	_ZN2at6native12_GLOBAL__N_145ctc_loss_backward_collect_nonblank_gpu_kernelIfiEEvPT_PKS3_lS6_S6_S6_PKlPKT0_S8_S6_llllllllllllS8_llb, .Lfunc_end16-_ZN2at6native12_GLOBAL__N_145ctc_loss_backward_collect_nonblank_gpu_kernelIfiEEvPT_PKS3_lS6_S6_S6_PKlPKT0_S8_S6_llllllllllllS8_llb
                                        ; -- End function
	.set _ZN2at6native12_GLOBAL__N_145ctc_loss_backward_collect_nonblank_gpu_kernelIfiEEvPT_PKS3_lS6_S6_S6_PKlPKT0_S8_S6_llllllllllllS8_llb.num_vgpr, 26
	.set _ZN2at6native12_GLOBAL__N_145ctc_loss_backward_collect_nonblank_gpu_kernelIfiEEvPT_PKS3_lS6_S6_S6_PKlPKT0_S8_S6_llllllllllllS8_llb.num_agpr, 0
	.set _ZN2at6native12_GLOBAL__N_145ctc_loss_backward_collect_nonblank_gpu_kernelIfiEEvPT_PKS3_lS6_S6_S6_PKlPKT0_S8_S6_llllllllllllS8_llb.numbered_sgpr, 44
	.set _ZN2at6native12_GLOBAL__N_145ctc_loss_backward_collect_nonblank_gpu_kernelIfiEEvPT_PKS3_lS6_S6_S6_PKlPKT0_S8_S6_llllllllllllS8_llb.num_named_barrier, 0
	.set _ZN2at6native12_GLOBAL__N_145ctc_loss_backward_collect_nonblank_gpu_kernelIfiEEvPT_PKS3_lS6_S6_S6_PKlPKT0_S8_S6_llllllllllllS8_llb.private_seg_size, 0
	.set _ZN2at6native12_GLOBAL__N_145ctc_loss_backward_collect_nonblank_gpu_kernelIfiEEvPT_PKS3_lS6_S6_S6_PKlPKT0_S8_S6_llllllllllllS8_llb.uses_vcc, 1
	.set _ZN2at6native12_GLOBAL__N_145ctc_loss_backward_collect_nonblank_gpu_kernelIfiEEvPT_PKS3_lS6_S6_S6_PKlPKT0_S8_S6_llllllllllllS8_llb.uses_flat_scratch, 0
	.set _ZN2at6native12_GLOBAL__N_145ctc_loss_backward_collect_nonblank_gpu_kernelIfiEEvPT_PKS3_lS6_S6_S6_PKlPKT0_S8_S6_llllllllllllS8_llb.has_dyn_sized_stack, 0
	.set _ZN2at6native12_GLOBAL__N_145ctc_loss_backward_collect_nonblank_gpu_kernelIfiEEvPT_PKS3_lS6_S6_S6_PKlPKT0_S8_S6_llllllllllllS8_llb.has_recursion, 0
	.set _ZN2at6native12_GLOBAL__N_145ctc_loss_backward_collect_nonblank_gpu_kernelIfiEEvPT_PKS3_lS6_S6_S6_PKlPKT0_S8_S6_llllllllllllS8_llb.has_indirect_call, 0
	.section	.AMDGPU.csdata,"",@progbits
; Kernel info:
; codeLenInByte = 1404
; TotalNumSgprs: 46
; NumVgprs: 26
; ScratchSize: 0
; MemoryBound: 0
; FloatMode: 240
; IeeeMode: 1
; LDSByteSize: 0 bytes/workgroup (compile time only)
; SGPRBlocks: 0
; VGPRBlocks: 3
; NumSGPRsForWavesPerEU: 46
; NumVGPRsForWavesPerEU: 26
; Occupancy: 16
; WaveLimiterHint : 1
; COMPUTE_PGM_RSRC2:SCRATCH_EN: 0
; COMPUTE_PGM_RSRC2:USER_SGPR: 2
; COMPUTE_PGM_RSRC2:TRAP_HANDLER: 0
; COMPUTE_PGM_RSRC2:TGID_X_EN: 1
; COMPUTE_PGM_RSRC2:TGID_Y_EN: 1
; COMPUTE_PGM_RSRC2:TGID_Z_EN: 0
; COMPUTE_PGM_RSRC2:TIDIG_COMP_CNT: 1
	.section	.text._ZN2at6native12_GLOBAL__N_136ctc_loss_backward_collect_gpu_kernelIfiEEvPT_PKS3_lS6_S6_S6_PKllPKT0_S8_lS6_llllllllllllS8_llllb,"axG",@progbits,_ZN2at6native12_GLOBAL__N_136ctc_loss_backward_collect_gpu_kernelIfiEEvPT_PKS3_lS6_S6_S6_PKllPKT0_S8_lS6_llllllllllllS8_llllb,comdat
	.globl	_ZN2at6native12_GLOBAL__N_136ctc_loss_backward_collect_gpu_kernelIfiEEvPT_PKS3_lS6_S6_S6_PKllPKT0_S8_lS6_llllllllllllS8_llllb ; -- Begin function _ZN2at6native12_GLOBAL__N_136ctc_loss_backward_collect_gpu_kernelIfiEEvPT_PKS3_lS6_S6_S6_PKllPKT0_S8_lS6_llllllllllllS8_llllb
	.p2align	8
	.type	_ZN2at6native12_GLOBAL__N_136ctc_loss_backward_collect_gpu_kernelIfiEEvPT_PKS3_lS6_S6_S6_PKllPKT0_S8_lS6_llllllllllllS8_llllb,@function
_ZN2at6native12_GLOBAL__N_136ctc_loss_backward_collect_gpu_kernelIfiEEvPT_PKS3_lS6_S6_S6_PKllPKT0_S8_lS6_llllllllllllS8_llllb: ; @_ZN2at6native12_GLOBAL__N_136ctc_loss_backward_collect_gpu_kernelIfiEEvPT_PKS3_lS6_S6_S6_PKllPKT0_S8_lS6_llllllllllllS8_llllb
; %bb.0:
	s_load_b32 s4, s[0:1], 0xfc
	v_bfe_u32 v1, v0, 10, 10
	s_clause 0x1
	s_load_b64 s[2:3], s[0:1], 0x38
	s_load_b256 s[20:27], s[0:1], 0xc8
	v_and_b32_e32 v0, 0x3ff, v0
	s_wait_kmcnt 0x0
	s_lshr_b32 s5, s4, 16
	s_and_b32 s4, s4, 0xffff
	v_mad_co_u64_u32 v[4:5], null, ttmp7, s5, v[1:2]
	v_mov_b32_e32 v5, 0
	s_delay_alu instid0(VALU_DEP_1) | instskip(NEXT) | instid1(VALU_DEP_1)
	v_mov_b32_e32 v1, v5
	v_mad_co_u64_u32 v[0:1], null, s4, ttmp9, v[0:1]
	s_delay_alu instid0(VALU_DEP_1)
	v_cmp_gt_i64_e32 vcc_lo, s[2:3], v[0:1]
	v_cmp_gt_i64_e64 s2, s[22:23], v[4:5]
	s_and_b32 s2, vcc_lo, s2
	s_wait_alu 0xfffe
	s_and_saveexec_b32 s3, s2
	s_cbranch_execz .LBB17_15
; %bb.1:
	s_clause 0x2
	s_load_b64 s[4:5], s[0:1], 0x30
	s_load_b64 s[2:3], s[0:1], 0x50
	;; [unrolled: 1-line block ×3, first 2 shown]
	v_lshlrev_b64_e32 v[8:9], 3, v[4:5]
	s_wait_kmcnt 0x0
	s_delay_alu instid0(VALU_DEP_1) | instskip(NEXT) | instid1(VALU_DEP_1)
	v_add_co_u32 v2, vcc_lo, s4, v8
	v_add_co_ci_u32_e64 v3, null, s5, v9, vcc_lo
	s_load_b512 s[4:19], s[0:1], 0x60
	global_load_b64 v[2:3], v[2:3], off
	s_wait_kmcnt 0x0
	v_mad_co_u64_u32 v[6:7], null, s6, v4, 0
	v_cmp_lt_i64_e64 s6, s[2:3], 0
	v_mul_lo_u32 v16, v1, s4
	v_mul_lo_u32 v17, v0, s5
	s_and_b32 vcc_lo, exec_lo, s6
	v_mad_co_u64_u32 v[10:11], null, s7, v4, v[7:8]
	s_mov_b64 s[6:7], 0
	v_mov_b32_e32 v7, v10
	s_delay_alu instid0(VALU_DEP_1)
	v_lshlrev_b64_e32 v[6:7], 2, v[6:7]
	s_wait_alu 0xfffe
	s_cbranch_vccnz .LBB17_10
; %bb.2:
	s_clause 0x3
	s_load_b64 s[34:35], s[0:1], 0xc0
	s_load_b128 s[28:31], s[0:1], 0x40
	s_load_b128 s[44:47], s[0:1], 0x18
	s_load_b256 s[36:43], s[0:1], 0xa0
	v_mul_lo_u32 v24, v1, s18
	v_mul_lo_u32 v25, v0, s19
	v_mad_co_u64_u32 v[14:15], null, v0, s18, 0
	v_mad_co_u64_u32 v[18:19], null, v0, s4, 0
	s_lshl_b64 s[18:19], s[2:3], 1
	s_mov_b32 s3, 0
	v_add3_u32 v15, v15, v25, v24
	v_add3_u32 v19, v19, v17, v16
	s_delay_alu instid0(VALU_DEP_2)
	v_lshlrev_b64_e32 v[14:15], 2, v[14:15]
	s_wait_kmcnt 0x0
	v_add_co_u32 v10, vcc_lo, s34, v8
	s_wait_alu 0xfffd
	v_add_co_ci_u32_e64 v11, null, s35, v9, vcc_lo
	v_add_co_u32 v8, vcc_lo, s30, v8
	s_wait_alu 0xfffd
	v_add_co_ci_u32_e64 v9, null, s31, v9, vcc_lo
	global_load_b64 v[10:11], v[10:11], off
	global_load_b64 v[12:13], v[8:9], off
	v_mad_co_u64_u32 v[8:9], null, s16, v4, 0
	v_mad_co_u64_u32 v[20:21], null, s38, v4, 0
	v_mul_lo_u32 v27, v1, s40
	v_mul_lo_u32 v28, v0, s41
	v_lshlrev_b64_e32 v[25:26], 2, v[18:19]
	s_wait_loadcnt 0x1
	v_mad_co_u64_u32 v[22:23], null, s17, v4, v[9:10]
	v_mad_co_u64_u32 v[23:24], null, v0, s40, 0
	s_wait_loadcnt 0x0
	v_lshlrev_b64_e32 v[12:13], 1, v[12:13]
	s_lshl_b64 s[16:17], s[36:37], 2
	s_delay_alu instid0(VALU_DEP_3) | instskip(SKIP_2) | instid1(VALU_DEP_3)
	v_mov_b32_e32 v9, v22
	v_mad_co_u64_u32 v[21:22], null, s39, v4, v[21:22]
	v_add_co_u32 v22, vcc_lo, s22, v6
	v_lshlrev_b64_e32 v[8:9], 2, v[8:9]
	s_wait_alu 0xfffd
	v_add_co_ci_u32_e64 v29, null, s23, v7, vcc_lo
	v_add3_u32 v24, v24, v28, v27
	v_lshlrev_b64_e32 v[20:21], 2, v[20:21]
	s_delay_alu instid0(VALU_DEP_4) | instskip(SKIP_3) | instid1(VALU_DEP_3)
	v_add_co_u32 v8, vcc_lo, s44, v8
	s_wait_alu 0xfffd
	v_add_co_ci_u32_e64 v9, null, s45, v9, vcc_lo
	v_lshlrev_b64_e32 v[18:19], 2, v[23:24]
	v_add_co_u32 v8, vcc_lo, v8, v14
	s_wait_alu 0xfffd
	s_delay_alu instid0(VALU_DEP_3) | instskip(SKIP_4) | instid1(VALU_DEP_3)
	v_add_co_ci_u32_e64 v9, null, v9, v15, vcc_lo
	v_add_co_u32 v20, vcc_lo, s46, v20
	v_lshlrev_b64_e32 v[14:15], 2, v[10:11]
	s_wait_alu 0xfffd
	v_add_co_ci_u32_e64 v21, null, s47, v21, vcc_lo
	v_add_co_u32 v10, vcc_lo, v20, v18
	s_wait_alu 0xfffd
	s_delay_alu instid0(VALU_DEP_2)
	v_add_co_ci_u32_e64 v11, null, v21, v19, vcc_lo
	v_add_co_u32 v18, vcc_lo, s28, v14
	s_wait_alu 0xfffd
	v_add_co_ci_u32_e64 v19, null, s29, v15, vcc_lo
	v_add_co_u32 v20, vcc_lo, v22, v25
	s_wait_alu 0xfffd
	v_add_co_ci_u32_e64 v21, null, v29, v26, vcc_lo
	s_lshl_b64 s[28:29], s[42:43], 2
	s_branch .LBB17_5
.LBB17_3:                               ;   in Loop: Header=BB17_5 Depth=1
	s_wait_alu 0xfffe
	s_or_b32 exec_lo, exec_lo, s30
	global_store_b32 v[14:15], v22, off
.LBB17_4:                               ;   in Loop: Header=BB17_5 Depth=1
	s_wait_alu 0xfffe
	s_or_b32 exec_lo, exec_lo, s5
	s_add_nc_u64 s[6:7], s[6:7], 1
	v_add_co_u32 v8, vcc_lo, v8, s16
	s_wait_alu 0xfffe
	v_cmp_lt_i64_e64 s2, s[18:19], s[6:7]
	s_wait_alu 0xfffd
	v_add_co_ci_u32_e64 v9, null, s17, v9, vcc_lo
	v_add_co_u32 v10, vcc_lo, v10, s28
	s_wait_alu 0xfffd
	v_add_co_ci_u32_e64 v11, null, s29, v11, vcc_lo
	s_and_b32 vcc_lo, exec_lo, s2
	s_wait_alu 0xfffe
	s_cbranch_vccnz .LBB17_10
.LBB17_5:                               ; =>This Inner Loop Header: Depth=1
	s_mov_b32 s5, exec_lo
	v_cmpx_le_i64_e64 s[6:7], v[12:13]
	s_cbranch_execz .LBB17_4
; %bb.6:                                ;   in Loop: Header=BB17_5 Depth=1
	v_dual_mov_b32 v14, s26 :: v_dual_mov_b32 v15, s27
	s_and_b32 s2, s6, 1
	s_wait_alu 0xfffe
	s_cmp_eq_u64 s[2:3], 0
	s_cbranch_scc1 .LBB17_8
; %bb.7:                                ;   in Loop: Header=BB17_5 Depth=1
	s_lshr_b64 s[30:31], s[6:7], 1
	s_wait_alu 0xfffe
	s_mul_u64 s[30:31], s[20:21], s[30:31]
	s_wait_alu 0xfffe
	s_lshl_b64 s[30:31], s[30:31], 2
	s_wait_alu 0xfffe
	v_add_co_u32 v14, vcc_lo, v18, s30
	s_wait_alu 0xfffd
	v_add_co_ci_u32_e64 v15, null, s31, v19, vcc_lo
	global_load_b32 v14, v[14:15], off
	s_wait_loadcnt 0x0
	v_ashrrev_i32_e32 v15, 31, v14
.LBB17_8:                               ;   in Loop: Header=BB17_5 Depth=1
	s_delay_alu instid0(VALU_DEP_1) | instskip(SKIP_4) | instid1(VALU_DEP_1)
	v_mul_lo_u32 v22, v15, s8
	v_mul_lo_u32 v23, v14, s9
	v_mad_co_u64_u32 v[14:15], null, v14, s8, 0
	s_mov_b32 s30, exec_lo
	v_add3_u32 v15, v15, v23, v22
	v_lshlrev_b64_e32 v[14:15], 2, v[14:15]
	s_delay_alu instid0(VALU_DEP_1) | instskip(SKIP_1) | instid1(VALU_DEP_2)
	v_add_co_u32 v14, vcc_lo, v20, v14
	s_wait_alu 0xfffd
	v_add_co_ci_u32_e64 v15, null, v21, v15, vcc_lo
	global_load_b32 v22, v[8:9], off
	global_load_b32 v24, v[10:11], off
	;; [unrolled: 1-line block ×3, first 2 shown]
	s_wait_loadcnt 0x1
	v_add_f32_e32 v22, v22, v24
	s_wait_loadcnt 0x0
	v_cmpx_neq_f32_e32 0xff800000, v23
	s_cbranch_execz .LBB17_3
; %bb.9:                                ;   in Loop: Header=BB17_5 Depth=1
	s_delay_alu instid0(VALU_DEP_2) | instskip(SKIP_2) | instid1(VALU_DEP_1)
	v_cmp_gt_f32_e32 vcc_lo, v23, v22
	s_wait_alu 0xfffd
	v_cndmask_b32_e32 v24, v22, v23, vcc_lo
	v_sub_f32_e32 v23, v23, v24
	s_delay_alu instid0(VALU_DEP_1) | instskip(NEXT) | instid1(VALU_DEP_1)
	v_mul_f32_e32 v25, 0x3fb8aa3b, v23
	v_rndne_f32_e32 v28, v25
	v_fma_f32 v27, 0x3fb8aa3b, v23, -v25
	s_delay_alu instid0(VALU_DEP_2) | instskip(SKIP_1) | instid1(VALU_DEP_1)
	v_sub_f32_e32 v25, v25, v28
	v_sub_f32_e32 v22, v22, v24
	v_mul_f32_e32 v26, 0x3fb8aa3b, v22
	s_delay_alu instid0(VALU_DEP_4) | instskip(SKIP_1) | instid1(VALU_DEP_3)
	v_fmac_f32_e32 v27, 0x32a5705f, v23
	v_cmp_ngt_f32_e32 vcc_lo, 0xc2ce8ed0, v23
	v_fma_f32 v29, 0x3fb8aa3b, v22, -v26
	v_rndne_f32_e32 v30, v26
	s_delay_alu instid0(VALU_DEP_2) | instskip(NEXT) | instid1(VALU_DEP_2)
	v_fmac_f32_e32 v29, 0x32a5705f, v22
	v_dual_sub_f32 v26, v26, v30 :: v_dual_add_f32 v25, v25, v27
	v_cvt_i32_f32_e32 v27, v28
	v_cvt_i32_f32_e32 v28, v30
	s_delay_alu instid0(VALU_DEP_3) | instskip(NEXT) | instid1(VALU_DEP_4)
	v_add_f32_e32 v26, v26, v29
	v_exp_f32_e32 v25, v25
	s_delay_alu instid0(VALU_DEP_1) | instskip(NEXT) | instid1(TRANS32_DEP_2)
	v_exp_f32_e32 v26, v26
	v_ldexp_f32 v25, v25, v27
	s_delay_alu instid0(TRANS32_DEP_1) | instskip(SKIP_1) | instid1(VALU_DEP_2)
	v_ldexp_f32 v26, v26, v28
	s_wait_alu 0xfffd
	v_cndmask_b32_e32 v25, 0, v25, vcc_lo
	v_cmp_ngt_f32_e32 vcc_lo, 0xc2ce8ed0, v22
	s_wait_alu 0xfffd
	v_cndmask_b32_e32 v26, 0, v26, vcc_lo
	v_cmp_nlt_f32_e32 vcc_lo, 0x42b17218, v23
	s_wait_alu 0xfffd
	v_cndmask_b32_e32 v23, 0x7f800000, v25, vcc_lo
	v_cmp_nlt_f32_e32 vcc_lo, 0x42b17218, v22
	s_wait_alu 0xfffd
	v_cndmask_b32_e32 v22, 0x7f800000, v26, vcc_lo
	s_delay_alu instid0(VALU_DEP_1) | instskip(NEXT) | instid1(VALU_DEP_1)
	v_add_f32_e32 v22, v23, v22
	v_cmp_gt_f32_e32 vcc_lo, 0x800000, v22
	s_wait_alu 0xfffd
	v_cndmask_b32_e64 v23, 0, 32, vcc_lo
	s_delay_alu instid0(VALU_DEP_1) | instskip(NEXT) | instid1(VALU_DEP_1)
	v_ldexp_f32 v22, v22, v23
	v_log_f32_e32 v22, v22
	s_delay_alu instid0(TRANS32_DEP_1) | instskip(SKIP_1) | instid1(VALU_DEP_2)
	v_mul_f32_e32 v23, 0x3f317217, v22
	v_cmp_gt_f32_e64 s2, 0x7f800000, |v22|
	v_fma_f32 v23, 0x3f317217, v22, -v23
	s_delay_alu instid0(VALU_DEP_1) | instskip(NEXT) | instid1(VALU_DEP_1)
	v_fmac_f32_e32 v23, 0x3377d1cf, v22
	v_fmac_f32_e32 v23, 0x3f317217, v22
	s_wait_alu 0xf1ff
	s_delay_alu instid0(VALU_DEP_1) | instskip(SKIP_1) | instid1(VALU_DEP_1)
	v_cndmask_b32_e64 v22, v22, v23, s2
	v_cndmask_b32_e64 v23, 0, 0x41b17218, vcc_lo
	v_sub_f32_e32 v22, v22, v23
	s_delay_alu instid0(VALU_DEP_1)
	v_add_f32_e32 v22, v24, v22
	s_branch .LBB17_3
.LBB17_10:
	v_cmp_lt_i64_e64 s2, s[24:25], 1
	s_and_b32 vcc_lo, exec_lo, s2
	s_wait_alu 0xfffe
	s_cbranch_vccnz .LBB17_15
; %bb.11:
	s_clause 0x3
	s_load_b128 s[16:19], s[0:1], 0x8
	s_load_b64 s[2:3], s[0:1], 0x58
	s_load_b64 s[6:7], s[0:1], 0x28
	s_load_b32 s0, s[0:1], 0xe8
	s_wait_kmcnt 0x0
	v_mad_co_u64_u32 v[9:10], null, s18, v4, 0
	s_bitcmp1_b32 s0, 0
	s_cselect_b32 s0, -1, 0
	v_mov_b32_e32 v8, v10
	v_lshlrev_b64_e32 v[10:11], 2, v[4:5]
	s_delay_alu instid0(VALU_DEP_2) | instskip(NEXT) | instid1(VALU_DEP_2)
	v_mad_co_u64_u32 v[12:13], null, s19, v4, v[8:9]
	v_add_co_u32 v13, vcc_lo, s2, v10
	s_wait_alu 0xfffd
	s_delay_alu instid0(VALU_DEP_3) | instskip(SKIP_2) | instid1(VALU_DEP_3)
	v_add_co_ci_u32_e64 v14, null, s3, v11, vcc_lo
	s_wait_alu 0xfffe
	s_xor_b32 s2, s0, -1
	v_mov_b32_e32 v10, v12
	global_load_b32 v8, v[13:14], off
	v_mad_co_u64_u32 v[12:13], null, v0, s4, 0
	v_mad_co_u64_u32 v[14:15], null, v0, s10, 0
	v_lshlrev_b64_e32 v[9:10], 2, v[9:10]
	s_delay_alu instid0(VALU_DEP_3) | instskip(SKIP_1) | instid1(VALU_DEP_3)
	v_add3_u32 v13, v13, v17, v16
	v_mul_lo_u32 v16, v1, s10
	v_add_co_u32 v9, vcc_lo, s16, v9
	s_wait_alu 0xfffd
	s_delay_alu instid0(VALU_DEP_4) | instskip(SKIP_4) | instid1(VALU_DEP_2)
	v_add_co_ci_u32_e64 v10, null, s17, v10, vcc_lo
	v_mul_lo_u32 v17, v0, s11
	global_load_b32 v9, v[9:10], off
	v_mad_co_u64_u32 v[10:11], null, s12, v4, 0
	v_add3_u32 v15, v15, v17, v16
	v_mov_b32_e32 v5, v11
	s_delay_alu instid0(VALU_DEP_1) | instskip(NEXT) | instid1(VALU_DEP_1)
	v_mad_co_u64_u32 v[4:5], null, s13, v4, v[5:6]
	v_mov_b32_e32 v11, v4
	v_lshlrev_b64_e32 v[4:5], 2, v[12:13]
	v_add_co_u32 v12, vcc_lo, s22, v6
	s_wait_alu 0xfffd
	v_add_co_ci_u32_e64 v13, null, s23, v7, vcc_lo
	v_lshlrev_b64_e32 v[6:7], 2, v[10:11]
	s_delay_alu instid0(VALU_DEP_3) | instskip(SKIP_1) | instid1(VALU_DEP_3)
	v_add_co_u32 v4, vcc_lo, v12, v4
	s_wait_alu 0xfffd
	v_add_co_ci_u32_e64 v5, null, v13, v5, vcc_lo
	s_wait_loadcnt 0x2
	v_cmp_lt_i64_e32 vcc_lo, v[0:1], v[2:3]
	v_lshlrev_b64_e32 v[0:1], 2, v[14:15]
	v_add_co_u32 v2, s1, s6, v6
	s_wait_alu 0xf1ff
	v_add_co_ci_u32_e64 v3, null, s7, v7, s1
	s_wait_loadcnt 0x1
	v_cmp_neq_f32_e64 s0, 0x7f800000, v8
	s_wait_alu 0xfffe
	s_or_b32 s1, s2, s0
	v_add_co_u32 v0, s0, v2, v0
	s_wait_alu 0xf1ff
	v_add_co_ci_u32_e64 v1, null, v3, v1, s0
	s_wait_alu 0xfffe
	s_and_b32 s4, vcc_lo, s1
	s_lshl_b64 s[0:1], s[14:15], 2
	s_lshl_b64 s[2:3], s[8:9], 2
	s_branch .LBB17_13
.LBB17_12:                              ;   in Loop: Header=BB17_13 Depth=1
	s_wait_alu 0xfffe
	s_or_b32 exec_lo, exec_lo, s5
	v_add_co_u32 v0, vcc_lo, v0, s0
	global_store_b32 v[4:5], v2, off
	s_wait_alu 0xfffd
	v_add_co_ci_u32_e64 v1, null, s1, v1, vcc_lo
	v_add_co_u32 v4, vcc_lo, v4, s2
	s_wait_alu 0xfffd
	v_add_co_ci_u32_e64 v5, null, s3, v5, vcc_lo
	s_add_nc_u64 s[24:25], s[24:25], -1
	s_wait_alu 0xfffe
	s_cmp_lg_u64 s[24:25], 0
	s_cbranch_scc0 .LBB17_15
.LBB17_13:                              ; =>This Inner Loop Header: Depth=1
	v_mov_b32_e32 v2, 0
	s_wait_alu 0xfffe
	s_and_saveexec_b32 s5, s4
	s_cbranch_execz .LBB17_12
; %bb.14:                               ;   in Loop: Header=BB17_13 Depth=1
	global_load_b32 v2, v[4:5], off
	global_load_b32 v3, v[0:1], off
	s_wait_loadcnt 0x0
	v_mul_f32_e32 v6, 0x3fb8aa3b, v3
	v_cmp_ngt_f32_e32 vcc_lo, 0xc2ce8ed0, v3
	s_delay_alu instid0(VALU_DEP_2) | instskip(NEXT) | instid1(VALU_DEP_1)
	v_fma_f32 v11, 0x3fb8aa3b, v3, -v6
	v_dual_add_f32 v2, v8, v2 :: v_dual_fmac_f32 v11, 0x32a5705f, v3
	s_delay_alu instid0(VALU_DEP_1) | instskip(NEXT) | instid1(VALU_DEP_1)
	v_sub_f32_e32 v2, v2, v3
	v_mul_f32_e32 v7, 0x3fb8aa3b, v2
	v_rndne_f32_e32 v10, v6
	s_delay_alu instid0(VALU_DEP_2) | instskip(SKIP_1) | instid1(VALU_DEP_1)
	v_fma_f32 v12, 0x3fb8aa3b, v2, -v7
	v_rndne_f32_e32 v13, v7
	v_dual_sub_f32 v7, v7, v13 :: v_dual_fmac_f32 v12, 0x32a5705f, v2
	s_delay_alu instid0(VALU_DEP_4) | instskip(SKIP_1) | instid1(VALU_DEP_2)
	v_sub_f32_e32 v6, v6, v10
	v_cvt_i32_f32_e32 v10, v10
	v_dual_add_f32 v7, v7, v12 :: v_dual_add_f32 v6, v6, v11
	v_cvt_i32_f32_e32 v11, v13
	s_delay_alu instid0(VALU_DEP_2) | instskip(NEXT) | instid1(VALU_DEP_2)
	v_exp_f32_e32 v7, v7
	v_exp_f32_e32 v6, v6
	s_delay_alu instid0(TRANS32_DEP_2) | instskip(NEXT) | instid1(TRANS32_DEP_1)
	v_ldexp_f32 v7, v7, v11
	v_ldexp_f32 v6, v6, v10
	s_wait_alu 0xfffd
	s_delay_alu instid0(VALU_DEP_1)
	v_cndmask_b32_e32 v6, 0, v6, vcc_lo
	v_cmp_ngt_f32_e32 vcc_lo, 0xc2ce8ed0, v2
	s_wait_alu 0xfffd
	v_cndmask_b32_e32 v7, 0, v7, vcc_lo
	v_cmp_nlt_f32_e32 vcc_lo, 0x42b17218, v3
	s_wait_alu 0xfffd
	v_cndmask_b32_e32 v3, 0x7f800000, v6, vcc_lo
	v_cmp_nlt_f32_e32 vcc_lo, 0x42b17218, v2
	s_wait_alu 0xfffd
	v_cndmask_b32_e32 v2, 0x7f800000, v7, vcc_lo
	s_delay_alu instid0(VALU_DEP_1) | instskip(NEXT) | instid1(VALU_DEP_1)
	v_sub_f32_e32 v2, v3, v2
	v_mul_f32_e32 v2, v9, v2
	s_branch .LBB17_12
.LBB17_15:
	s_endpgm
	.section	.rodata,"a",@progbits
	.p2align	6, 0x0
	.amdhsa_kernel _ZN2at6native12_GLOBAL__N_136ctc_loss_backward_collect_gpu_kernelIfiEEvPT_PKS3_lS6_S6_S6_PKllPKT0_S8_lS6_llllllllllllS8_llllb
		.amdhsa_group_segment_fixed_size 0
		.amdhsa_private_segment_fixed_size 0
		.amdhsa_kernarg_size 496
		.amdhsa_user_sgpr_count 2
		.amdhsa_user_sgpr_dispatch_ptr 0
		.amdhsa_user_sgpr_queue_ptr 0
		.amdhsa_user_sgpr_kernarg_segment_ptr 1
		.amdhsa_user_sgpr_dispatch_id 0
		.amdhsa_user_sgpr_private_segment_size 0
		.amdhsa_wavefront_size32 1
		.amdhsa_uses_dynamic_stack 0
		.amdhsa_enable_private_segment 0
		.amdhsa_system_sgpr_workgroup_id_x 1
		.amdhsa_system_sgpr_workgroup_id_y 1
		.amdhsa_system_sgpr_workgroup_id_z 0
		.amdhsa_system_sgpr_workgroup_info 0
		.amdhsa_system_vgpr_workitem_id 1
		.amdhsa_next_free_vgpr 31
		.amdhsa_next_free_sgpr 48
		.amdhsa_reserve_vcc 1
		.amdhsa_float_round_mode_32 0
		.amdhsa_float_round_mode_16_64 0
		.amdhsa_float_denorm_mode_32 3
		.amdhsa_float_denorm_mode_16_64 3
		.amdhsa_fp16_overflow 0
		.amdhsa_workgroup_processor_mode 1
		.amdhsa_memory_ordered 1
		.amdhsa_forward_progress 1
		.amdhsa_inst_pref_size 18
		.amdhsa_round_robin_scheduling 0
		.amdhsa_exception_fp_ieee_invalid_op 0
		.amdhsa_exception_fp_denorm_src 0
		.amdhsa_exception_fp_ieee_div_zero 0
		.amdhsa_exception_fp_ieee_overflow 0
		.amdhsa_exception_fp_ieee_underflow 0
		.amdhsa_exception_fp_ieee_inexact 0
		.amdhsa_exception_int_div_zero 0
	.end_amdhsa_kernel
	.section	.text._ZN2at6native12_GLOBAL__N_136ctc_loss_backward_collect_gpu_kernelIfiEEvPT_PKS3_lS6_S6_S6_PKllPKT0_S8_lS6_llllllllllllS8_llllb,"axG",@progbits,_ZN2at6native12_GLOBAL__N_136ctc_loss_backward_collect_gpu_kernelIfiEEvPT_PKS3_lS6_S6_S6_PKllPKT0_S8_lS6_llllllllllllS8_llllb,comdat
.Lfunc_end17:
	.size	_ZN2at6native12_GLOBAL__N_136ctc_loss_backward_collect_gpu_kernelIfiEEvPT_PKS3_lS6_S6_S6_PKllPKT0_S8_lS6_llllllllllllS8_llllb, .Lfunc_end17-_ZN2at6native12_GLOBAL__N_136ctc_loss_backward_collect_gpu_kernelIfiEEvPT_PKS3_lS6_S6_S6_PKllPKT0_S8_lS6_llllllllllllS8_llllb
                                        ; -- End function
	.set _ZN2at6native12_GLOBAL__N_136ctc_loss_backward_collect_gpu_kernelIfiEEvPT_PKS3_lS6_S6_S6_PKllPKT0_S8_lS6_llllllllllllS8_llllb.num_vgpr, 31
	.set _ZN2at6native12_GLOBAL__N_136ctc_loss_backward_collect_gpu_kernelIfiEEvPT_PKS3_lS6_S6_S6_PKllPKT0_S8_lS6_llllllllllllS8_llllb.num_agpr, 0
	.set _ZN2at6native12_GLOBAL__N_136ctc_loss_backward_collect_gpu_kernelIfiEEvPT_PKS3_lS6_S6_S6_PKllPKT0_S8_lS6_llllllllllllS8_llllb.numbered_sgpr, 48
	.set _ZN2at6native12_GLOBAL__N_136ctc_loss_backward_collect_gpu_kernelIfiEEvPT_PKS3_lS6_S6_S6_PKllPKT0_S8_lS6_llllllllllllS8_llllb.num_named_barrier, 0
	.set _ZN2at6native12_GLOBAL__N_136ctc_loss_backward_collect_gpu_kernelIfiEEvPT_PKS3_lS6_S6_S6_PKllPKT0_S8_lS6_llllllllllllS8_llllb.private_seg_size, 0
	.set _ZN2at6native12_GLOBAL__N_136ctc_loss_backward_collect_gpu_kernelIfiEEvPT_PKS3_lS6_S6_S6_PKllPKT0_S8_lS6_llllllllllllS8_llllb.uses_vcc, 1
	.set _ZN2at6native12_GLOBAL__N_136ctc_loss_backward_collect_gpu_kernelIfiEEvPT_PKS3_lS6_S6_S6_PKllPKT0_S8_lS6_llllllllllllS8_llllb.uses_flat_scratch, 0
	.set _ZN2at6native12_GLOBAL__N_136ctc_loss_backward_collect_gpu_kernelIfiEEvPT_PKS3_lS6_S6_S6_PKllPKT0_S8_lS6_llllllllllllS8_llllb.has_dyn_sized_stack, 0
	.set _ZN2at6native12_GLOBAL__N_136ctc_loss_backward_collect_gpu_kernelIfiEEvPT_PKS3_lS6_S6_S6_PKllPKT0_S8_lS6_llllllllllllS8_llllb.has_recursion, 0
	.set _ZN2at6native12_GLOBAL__N_136ctc_loss_backward_collect_gpu_kernelIfiEEvPT_PKS3_lS6_S6_S6_PKllPKT0_S8_lS6_llllllllllllS8_llllb.has_indirect_call, 0
	.section	.AMDGPU.csdata,"",@progbits
; Kernel info:
; codeLenInByte = 2184
; TotalNumSgprs: 50
; NumVgprs: 31
; ScratchSize: 0
; MemoryBound: 0
; FloatMode: 240
; IeeeMode: 1
; LDSByteSize: 0 bytes/workgroup (compile time only)
; SGPRBlocks: 0
; VGPRBlocks: 3
; NumSGPRsForWavesPerEU: 50
; NumVGPRsForWavesPerEU: 31
; Occupancy: 16
; WaveLimiterHint : 1
; COMPUTE_PGM_RSRC2:SCRATCH_EN: 0
; COMPUTE_PGM_RSRC2:USER_SGPR: 2
; COMPUTE_PGM_RSRC2:TRAP_HANDLER: 0
; COMPUTE_PGM_RSRC2:TGID_X_EN: 1
; COMPUTE_PGM_RSRC2:TGID_Y_EN: 1
; COMPUTE_PGM_RSRC2:TGID_Z_EN: 0
; COMPUTE_PGM_RSRC2:TIDIG_COMP_CNT: 1
	.section	.AMDGPU.gpr_maximums,"",@progbits
	.set amdgpu.max_num_vgpr, 0
	.set amdgpu.max_num_agpr, 0
	.set amdgpu.max_num_sgpr, 0
	.section	.AMDGPU.csdata,"",@progbits
	.type	__hip_cuid_d47f7591fa9db21b,@object ; @__hip_cuid_d47f7591fa9db21b
	.section	.bss,"aw",@nobits
	.globl	__hip_cuid_d47f7591fa9db21b
__hip_cuid_d47f7591fa9db21b:
	.byte	0                               ; 0x0
	.size	__hip_cuid_d47f7591fa9db21b, 1

	.ident	"AMD clang version 22.0.0git (https://github.com/RadeonOpenCompute/llvm-project roc-7.2.4 26084 f58b06dce1f9c15707c5f808fd002e18c2accf7e)"
	.section	".note.GNU-stack","",@progbits
	.addrsig
	.addrsig_sym __hip_cuid_d47f7591fa9db21b
	.amdgpu_metadata
---
amdhsa.kernels:
  - .args:
      - .address_space:  global
        .offset:         0
        .size:           8
        .value_kind:     global_buffer
      - .address_space:  global
        .offset:         8
        .size:           8
        .value_kind:     global_buffer
      - .actual_access:  read_only
        .address_space:  global
        .offset:         16
        .size:           8
        .value_kind:     global_buffer
      - .offset:         24
        .size:           8
        .value_kind:     by_value
      - .actual_access:  read_only
        .address_space:  global
        .offset:         32
        .size:           8
        .value_kind:     global_buffer
      - .actual_access:  read_only
        .address_space:  global
        .offset:         40
        .size:           8
        .value_kind:     global_buffer
      - .offset:         48
        .size:           8
        .value_kind:     by_value
      - .actual_access:  write_only
        .address_space:  global
        .offset:         56
        .size:           8
        .value_kind:     global_buffer
      - .offset:         64
        .size:           8
        .value_kind:     by_value
      - .offset:         72
        .size:           8
        .value_kind:     by_value
      - .offset:         80
        .size:           8
        .value_kind:     by_value
      - .offset:         88
        .size:           8
        .value_kind:     by_value
      - .offset:         96
        .size:           8
        .value_kind:     by_value
      - .offset:         104
        .size:           8
        .value_kind:     by_value
      - .actual_access:  read_only
        .address_space:  global
        .offset:         112
        .size:           8
        .value_kind:     global_buffer
      - .offset:         120
        .size:           8
        .value_kind:     by_value
      - .offset:         128
        .size:           8
        .value_kind:     by_value
      - .offset:         136
        .size:           8
        .value_kind:     by_value
      - .offset:         144
        .size:           4
        .value_kind:     hidden_block_count_x
      - .offset:         148
        .size:           4
        .value_kind:     hidden_block_count_y
      - .offset:         152
        .size:           4
        .value_kind:     hidden_block_count_z
      - .offset:         156
        .size:           2
        .value_kind:     hidden_group_size_x
      - .offset:         158
        .size:           2
        .value_kind:     hidden_group_size_y
      - .offset:         160
        .size:           2
        .value_kind:     hidden_group_size_z
      - .offset:         162
        .size:           2
        .value_kind:     hidden_remainder_x
      - .offset:         164
        .size:           2
        .value_kind:     hidden_remainder_y
      - .offset:         166
        .size:           2
        .value_kind:     hidden_remainder_z
      - .offset:         184
        .size:           8
        .value_kind:     hidden_global_offset_x
      - .offset:         192
        .size:           8
        .value_kind:     hidden_global_offset_y
      - .offset:         200
        .size:           8
        .value_kind:     hidden_global_offset_z
      - .offset:         208
        .size:           2
        .value_kind:     hidden_grid_dims
    .group_segment_fixed_size: 0
    .kernarg_segment_align: 8
    .kernarg_segment_size: 400
    .language:       OpenCL C
    .language_version:
      - 2
      - 0
    .max_flat_workgroup_size: 896
    .name:           _ZN2at6native12_GLOBAL__N_129ctc_loss_log_alpha_gpu_kernelIdlEEvPT_PKS3_PKllPKT0_S8_lS4_llllllS8_lll
    .private_segment_fixed_size: 0
    .sgpr_count:     93
    .sgpr_spill_count: 0
    .symbol:         _ZN2at6native12_GLOBAL__N_129ctc_loss_log_alpha_gpu_kernelIdlEEvPT_PKS3_PKllPKT0_S8_lS4_llllllS8_lll.kd
    .uniform_work_group_size: 1
    .uses_dynamic_stack: false
    .vgpr_count:     60
    .vgpr_spill_count: 0
    .wavefront_size: 32
    .workgroup_processor_mode: 1
  - .args:
      - .address_space:  global
        .offset:         0
        .size:           8
        .value_kind:     global_buffer
      - .address_space:  global
        .offset:         8
        .size:           8
        .value_kind:     global_buffer
      - .actual_access:  read_only
        .address_space:  global
        .offset:         16
        .size:           8
        .value_kind:     global_buffer
      - .offset:         24
        .size:           8
        .value_kind:     by_value
      - .actual_access:  read_only
        .address_space:  global
        .offset:         32
        .size:           8
        .value_kind:     global_buffer
      - .actual_access:  read_only
        .address_space:  global
        .offset:         40
        .size:           8
        .value_kind:     global_buffer
      - .offset:         48
        .size:           8
        .value_kind:     by_value
      - .actual_access:  write_only
        .address_space:  global
        .offset:         56
        .size:           8
        .value_kind:     global_buffer
      - .offset:         64
        .size:           8
        .value_kind:     by_value
      - .offset:         72
        .size:           8
        .value_kind:     by_value
      - .offset:         80
        .size:           8
        .value_kind:     by_value
      - .offset:         88
        .size:           8
        .value_kind:     by_value
      - .offset:         96
        .size:           8
        .value_kind:     by_value
      - .offset:         104
        .size:           8
        .value_kind:     by_value
      - .actual_access:  read_only
        .address_space:  global
        .offset:         112
        .size:           8
        .value_kind:     global_buffer
      - .offset:         120
        .size:           8
        .value_kind:     by_value
      - .offset:         128
        .size:           8
        .value_kind:     by_value
      - .offset:         136
        .size:           8
        .value_kind:     by_value
      - .offset:         144
        .size:           4
        .value_kind:     hidden_block_count_x
      - .offset:         148
        .size:           4
        .value_kind:     hidden_block_count_y
      - .offset:         152
        .size:           4
        .value_kind:     hidden_block_count_z
      - .offset:         156
        .size:           2
        .value_kind:     hidden_group_size_x
      - .offset:         158
        .size:           2
        .value_kind:     hidden_group_size_y
      - .offset:         160
        .size:           2
        .value_kind:     hidden_group_size_z
      - .offset:         162
        .size:           2
        .value_kind:     hidden_remainder_x
      - .offset:         164
        .size:           2
        .value_kind:     hidden_remainder_y
      - .offset:         166
        .size:           2
        .value_kind:     hidden_remainder_z
      - .offset:         184
        .size:           8
        .value_kind:     hidden_global_offset_x
      - .offset:         192
        .size:           8
        .value_kind:     hidden_global_offset_y
      - .offset:         200
        .size:           8
        .value_kind:     hidden_global_offset_z
      - .offset:         208
        .size:           2
        .value_kind:     hidden_grid_dims
    .group_segment_fixed_size: 0
    .kernarg_segment_align: 8
    .kernarg_segment_size: 400
    .language:       OpenCL C
    .language_version:
      - 2
      - 0
    .max_flat_workgroup_size: 896
    .name:           _ZN2at6native12_GLOBAL__N_129ctc_loss_log_alpha_gpu_kernelIdiEEvPT_PKS3_PKllPKT0_S8_lS4_llllllS8_lll
    .private_segment_fixed_size: 0
    .sgpr_count:     93
    .sgpr_spill_count: 0
    .symbol:         _ZN2at6native12_GLOBAL__N_129ctc_loss_log_alpha_gpu_kernelIdiEEvPT_PKS3_PKllPKT0_S8_lS4_llllllS8_lll.kd
    .uniform_work_group_size: 1
    .uses_dynamic_stack: false
    .vgpr_count:     60
    .vgpr_spill_count: 0
    .wavefront_size: 32
    .workgroup_processor_mode: 1
  - .args:
      - .address_space:  global
        .offset:         0
        .size:           8
        .value_kind:     global_buffer
      - .address_space:  global
        .offset:         8
        .size:           8
        .value_kind:     global_buffer
      - .actual_access:  read_only
        .address_space:  global
        .offset:         16
        .size:           8
        .value_kind:     global_buffer
      - .offset:         24
        .size:           8
        .value_kind:     by_value
      - .actual_access:  read_only
        .address_space:  global
        .offset:         32
        .size:           8
        .value_kind:     global_buffer
      - .actual_access:  read_only
        .address_space:  global
        .offset:         40
        .size:           8
        .value_kind:     global_buffer
      - .offset:         48
        .size:           8
        .value_kind:     by_value
      - .actual_access:  write_only
        .address_space:  global
        .offset:         56
        .size:           8
        .value_kind:     global_buffer
      - .offset:         64
        .size:           8
        .value_kind:     by_value
      - .offset:         72
        .size:           8
        .value_kind:     by_value
      - .offset:         80
        .size:           8
        .value_kind:     by_value
      - .offset:         88
        .size:           8
        .value_kind:     by_value
      - .offset:         96
        .size:           8
        .value_kind:     by_value
      - .offset:         104
        .size:           8
        .value_kind:     by_value
      - .actual_access:  read_only
        .address_space:  global
        .offset:         112
        .size:           8
        .value_kind:     global_buffer
      - .offset:         120
        .size:           8
        .value_kind:     by_value
      - .offset:         128
        .size:           8
        .value_kind:     by_value
      - .offset:         136
        .size:           8
        .value_kind:     by_value
      - .offset:         144
        .size:           4
        .value_kind:     hidden_block_count_x
      - .offset:         148
        .size:           4
        .value_kind:     hidden_block_count_y
      - .offset:         152
        .size:           4
        .value_kind:     hidden_block_count_z
      - .offset:         156
        .size:           2
        .value_kind:     hidden_group_size_x
      - .offset:         158
        .size:           2
        .value_kind:     hidden_group_size_y
      - .offset:         160
        .size:           2
        .value_kind:     hidden_group_size_z
      - .offset:         162
        .size:           2
        .value_kind:     hidden_remainder_x
      - .offset:         164
        .size:           2
        .value_kind:     hidden_remainder_y
      - .offset:         166
        .size:           2
        .value_kind:     hidden_remainder_z
      - .offset:         184
        .size:           8
        .value_kind:     hidden_global_offset_x
      - .offset:         192
        .size:           8
        .value_kind:     hidden_global_offset_y
      - .offset:         200
        .size:           8
        .value_kind:     hidden_global_offset_z
      - .offset:         208
        .size:           2
        .value_kind:     hidden_grid_dims
    .group_segment_fixed_size: 0
    .kernarg_segment_align: 8
    .kernarg_segment_size: 400
    .language:       OpenCL C
    .language_version:
      - 2
      - 0
    .max_flat_workgroup_size: 1024
    .name:           _ZN2at6native12_GLOBAL__N_129ctc_loss_log_alpha_gpu_kernelIflEEvPT_PKS3_PKllPKT0_S8_lS4_llllllS8_lll
    .private_segment_fixed_size: 0
    .sgpr_count:     44
    .sgpr_spill_count: 0
    .symbol:         _ZN2at6native12_GLOBAL__N_129ctc_loss_log_alpha_gpu_kernelIflEEvPT_PKS3_PKllPKT0_S8_lS4_llllllS8_lll.kd
    .uniform_work_group_size: 1
    .uses_dynamic_stack: false
    .vgpr_count:     47
    .vgpr_spill_count: 0
    .wavefront_size: 32
    .workgroup_processor_mode: 1
  - .args:
      - .address_space:  global
        .offset:         0
        .size:           8
        .value_kind:     global_buffer
      - .address_space:  global
        .offset:         8
        .size:           8
        .value_kind:     global_buffer
      - .actual_access:  read_only
        .address_space:  global
        .offset:         16
        .size:           8
        .value_kind:     global_buffer
      - .offset:         24
        .size:           8
        .value_kind:     by_value
      - .actual_access:  read_only
        .address_space:  global
        .offset:         32
        .size:           8
        .value_kind:     global_buffer
      - .actual_access:  read_only
        .address_space:  global
        .offset:         40
        .size:           8
        .value_kind:     global_buffer
      - .offset:         48
        .size:           8
        .value_kind:     by_value
      - .actual_access:  write_only
        .address_space:  global
        .offset:         56
        .size:           8
        .value_kind:     global_buffer
      - .offset:         64
        .size:           8
        .value_kind:     by_value
      - .offset:         72
        .size:           8
        .value_kind:     by_value
      - .offset:         80
        .size:           8
        .value_kind:     by_value
      - .offset:         88
        .size:           8
        .value_kind:     by_value
      - .offset:         96
        .size:           8
        .value_kind:     by_value
      - .offset:         104
        .size:           8
        .value_kind:     by_value
      - .actual_access:  read_only
        .address_space:  global
        .offset:         112
        .size:           8
        .value_kind:     global_buffer
      - .offset:         120
        .size:           8
        .value_kind:     by_value
      - .offset:         128
        .size:           8
        .value_kind:     by_value
      - .offset:         136
        .size:           8
        .value_kind:     by_value
      - .offset:         144
        .size:           4
        .value_kind:     hidden_block_count_x
      - .offset:         148
        .size:           4
        .value_kind:     hidden_block_count_y
      - .offset:         152
        .size:           4
        .value_kind:     hidden_block_count_z
      - .offset:         156
        .size:           2
        .value_kind:     hidden_group_size_x
      - .offset:         158
        .size:           2
        .value_kind:     hidden_group_size_y
      - .offset:         160
        .size:           2
        .value_kind:     hidden_group_size_z
      - .offset:         162
        .size:           2
        .value_kind:     hidden_remainder_x
      - .offset:         164
        .size:           2
        .value_kind:     hidden_remainder_y
      - .offset:         166
        .size:           2
        .value_kind:     hidden_remainder_z
      - .offset:         184
        .size:           8
        .value_kind:     hidden_global_offset_x
      - .offset:         192
        .size:           8
        .value_kind:     hidden_global_offset_y
      - .offset:         200
        .size:           8
        .value_kind:     hidden_global_offset_z
      - .offset:         208
        .size:           2
        .value_kind:     hidden_grid_dims
    .group_segment_fixed_size: 0
    .kernarg_segment_align: 8
    .kernarg_segment_size: 400
    .language:       OpenCL C
    .language_version:
      - 2
      - 0
    .max_flat_workgroup_size: 1024
    .name:           _ZN2at6native12_GLOBAL__N_129ctc_loss_log_alpha_gpu_kernelIfiEEvPT_PKS3_PKllPKT0_S8_lS4_llllllS8_lll
    .private_segment_fixed_size: 0
    .sgpr_count:     44
    .sgpr_spill_count: 0
    .symbol:         _ZN2at6native12_GLOBAL__N_129ctc_loss_log_alpha_gpu_kernelIfiEEvPT_PKS3_PKllPKT0_S8_lS4_llllllS8_lll.kd
    .uniform_work_group_size: 1
    .uses_dynamic_stack: false
    .vgpr_count:     47
    .vgpr_spill_count: 0
    .wavefront_size: 32
    .workgroup_processor_mode: 1
  - .args:
      - .address_space:  global
        .offset:         0
        .size:           8
        .value_kind:     global_buffer
      - .address_space:  global
        .offset:         8
        .size:           8
        .value_kind:     global_buffer
      - .actual_access:  read_only
        .address_space:  global
        .offset:         16
        .size:           8
        .value_kind:     global_buffer
      - .offset:         24
        .size:           8
        .value_kind:     by_value
      - .actual_access:  read_only
        .address_space:  global
        .offset:         32
        .size:           8
        .value_kind:     global_buffer
      - .actual_access:  read_only
        .address_space:  global
        .offset:         40
        .size:           8
        .value_kind:     global_buffer
      - .offset:         48
        .size:           8
        .value_kind:     by_value
      - .offset:         56
        .size:           8
        .value_kind:     by_value
      - .offset:         64
        .size:           8
        .value_kind:     by_value
      - .offset:         72
        .size:           8
        .value_kind:     by_value
      - .offset:         80
        .size:           8
        .value_kind:     by_value
      - .offset:         88
        .size:           8
        .value_kind:     by_value
      - .offset:         96
        .size:           8
        .value_kind:     by_value
      - .actual_access:  read_only
        .address_space:  global
        .offset:         104
        .size:           8
        .value_kind:     global_buffer
      - .offset:         112
        .size:           8
        .value_kind:     by_value
      - .offset:         120
        .size:           8
        .value_kind:     by_value
      - .offset:         128
        .size:           8
        .value_kind:     by_value
      - .offset:         136
        .size:           4
        .value_kind:     hidden_block_count_x
      - .offset:         140
        .size:           4
        .value_kind:     hidden_block_count_y
      - .offset:         144
        .size:           4
        .value_kind:     hidden_block_count_z
      - .offset:         148
        .size:           2
        .value_kind:     hidden_group_size_x
      - .offset:         150
        .size:           2
        .value_kind:     hidden_group_size_y
      - .offset:         152
        .size:           2
        .value_kind:     hidden_group_size_z
      - .offset:         154
        .size:           2
        .value_kind:     hidden_remainder_x
      - .offset:         156
        .size:           2
        .value_kind:     hidden_remainder_y
      - .offset:         158
        .size:           2
        .value_kind:     hidden_remainder_z
      - .offset:         176
        .size:           8
        .value_kind:     hidden_global_offset_x
      - .offset:         184
        .size:           8
        .value_kind:     hidden_global_offset_y
      - .offset:         192
        .size:           8
        .value_kind:     hidden_global_offset_z
      - .offset:         200
        .size:           2
        .value_kind:     hidden_grid_dims
    .group_segment_fixed_size: 0
    .kernarg_segment_align: 8
    .kernarg_segment_size: 392
    .language:       OpenCL C
    .language_version:
      - 2
      - 0
    .max_flat_workgroup_size: 896
    .name:           _ZN2at6native12_GLOBAL__N_137ctc_loss_backward_log_beta_gpu_kernelIdlEEvPT_PKS3_PKllPKT0_S8_lllllllS8_lll
    .private_segment_fixed_size: 0
    .sgpr_count:     85
    .sgpr_spill_count: 0
    .symbol:         _ZN2at6native12_GLOBAL__N_137ctc_loss_backward_log_beta_gpu_kernelIdlEEvPT_PKS3_PKllPKT0_S8_lllllllS8_lll.kd
    .uniform_work_group_size: 1
    .uses_dynamic_stack: false
    .vgpr_count:     60
    .vgpr_spill_count: 0
    .wavefront_size: 32
    .workgroup_processor_mode: 1
  - .args:
      - .address_space:  global
        .offset:         0
        .size:           8
        .value_kind:     global_buffer
      - .actual_access:  read_only
        .address_space:  global
        .offset:         8
        .size:           8
        .value_kind:     global_buffer
      - .offset:         16
        .size:           8
        .value_kind:     by_value
      - .actual_access:  read_only
        .address_space:  global
        .offset:         24
        .size:           8
        .value_kind:     global_buffer
      - .actual_access:  read_only
        .address_space:  global
        .offset:         32
        .size:           8
        .value_kind:     global_buffer
      - .address_space:  global
        .offset:         40
        .size:           8
        .value_kind:     global_buffer
      - .actual_access:  read_only
        .address_space:  global
        .offset:         48
        .size:           8
        .value_kind:     global_buffer
      - .actual_access:  read_only
        .address_space:  global
        .offset:         56
        .size:           8
        .value_kind:     global_buffer
      - .actual_access:  read_only
        .address_space:  global
        .offset:         64
        .size:           8
        .value_kind:     global_buffer
      - .actual_access:  read_only
        .address_space:  global
        .offset:         72
        .size:           8
        .value_kind:     global_buffer
      - .offset:         80
        .size:           8
        .value_kind:     by_value
      - .offset:         88
        .size:           8
        .value_kind:     by_value
      - .offset:         96
        .size:           8
        .value_kind:     by_value
      - .offset:         104
        .size:           8
        .value_kind:     by_value
      - .offset:         112
        .size:           8
        .value_kind:     by_value
      - .offset:         120
        .size:           8
        .value_kind:     by_value
      - .offset:         128
        .size:           8
        .value_kind:     by_value
      - .offset:         136
        .size:           8
        .value_kind:     by_value
      - .offset:         144
        .size:           8
        .value_kind:     by_value
      - .offset:         152
        .size:           8
        .value_kind:     by_value
      - .offset:         160
        .size:           8
        .value_kind:     by_value
      - .offset:         168
        .size:           8
        .value_kind:     by_value
      - .actual_access:  read_only
        .address_space:  global
        .offset:         176
        .size:           8
        .value_kind:     global_buffer
      - .offset:         184
        .size:           8
        .value_kind:     by_value
      - .offset:         192
        .size:           8
        .value_kind:     by_value
      - .offset:         200
        .size:           1
        .value_kind:     by_value
      - .offset:         208
        .size:           4
        .value_kind:     hidden_block_count_x
      - .offset:         212
        .size:           4
        .value_kind:     hidden_block_count_y
      - .offset:         216
        .size:           4
        .value_kind:     hidden_block_count_z
      - .offset:         220
        .size:           2
        .value_kind:     hidden_group_size_x
      - .offset:         222
        .size:           2
        .value_kind:     hidden_group_size_y
      - .offset:         224
        .size:           2
        .value_kind:     hidden_group_size_z
      - .offset:         226
        .size:           2
        .value_kind:     hidden_remainder_x
      - .offset:         228
        .size:           2
        .value_kind:     hidden_remainder_y
      - .offset:         230
        .size:           2
        .value_kind:     hidden_remainder_z
      - .offset:         248
        .size:           8
        .value_kind:     hidden_global_offset_x
      - .offset:         256
        .size:           8
        .value_kind:     hidden_global_offset_y
      - .offset:         264
        .size:           8
        .value_kind:     hidden_global_offset_z
      - .offset:         272
        .size:           2
        .value_kind:     hidden_grid_dims
    .group_segment_fixed_size: 0
    .kernarg_segment_align: 8
    .kernarg_segment_size: 464
    .language:       OpenCL C
    .language_version:
      - 2
      - 0
    .max_flat_workgroup_size: 896
    .name:           _ZN2at6native12_GLOBAL__N_145ctc_loss_backward_collect_nonblank_gpu_kernelIdlEEvPT_PKS3_lS6_S6_S6_PKlPKT0_S8_S6_llllllllllllS8_llb
    .private_segment_fixed_size: 0
    .sgpr_count:     60
    .sgpr_spill_count: 0
    .symbol:         _ZN2at6native12_GLOBAL__N_145ctc_loss_backward_collect_nonblank_gpu_kernelIdlEEvPT_PKS3_lS6_S6_S6_PKlPKT0_S8_S6_llllllllllllS8_llb.kd
    .uniform_work_group_size: 1
    .uses_dynamic_stack: false
    .vgpr_count:     28
    .vgpr_spill_count: 0
    .wavefront_size: 32
    .workgroup_processor_mode: 1
  - .args:
      - .address_space:  global
        .offset:         0
        .size:           8
        .value_kind:     global_buffer
      - .actual_access:  read_only
        .address_space:  global
        .offset:         8
        .size:           8
        .value_kind:     global_buffer
      - .offset:         16
        .size:           8
        .value_kind:     by_value
      - .actual_access:  read_only
        .address_space:  global
        .offset:         24
        .size:           8
        .value_kind:     global_buffer
      - .actual_access:  read_only
        .address_space:  global
        .offset:         32
        .size:           8
        .value_kind:     global_buffer
      - .address_space:  global
        .offset:         40
        .size:           8
        .value_kind:     global_buffer
      - .actual_access:  read_only
        .address_space:  global
        .offset:         48
        .size:           8
        .value_kind:     global_buffer
      - .offset:         56
        .size:           8
        .value_kind:     by_value
      - .actual_access:  read_only
        .address_space:  global
        .offset:         64
        .size:           8
        .value_kind:     global_buffer
      - .actual_access:  read_only
        .address_space:  global
        .offset:         72
        .size:           8
        .value_kind:     global_buffer
      - .offset:         80
        .size:           8
        .value_kind:     by_value
      - .actual_access:  read_only
        .address_space:  global
        .offset:         88
        .size:           8
        .value_kind:     global_buffer
      - .offset:         96
        .size:           8
        .value_kind:     by_value
      - .offset:         104
        .size:           8
        .value_kind:     by_value
      - .offset:         112
        .size:           8
        .value_kind:     by_value
      - .offset:         120
        .size:           8
        .value_kind:     by_value
      - .offset:         128
        .size:           8
        .value_kind:     by_value
      - .offset:         136
        .size:           8
        .value_kind:     by_value
      - .offset:         144
        .size:           8
        .value_kind:     by_value
      - .offset:         152
        .size:           8
        .value_kind:     by_value
      - .offset:         160
        .size:           8
        .value_kind:     by_value
      - .offset:         168
        .size:           8
        .value_kind:     by_value
      - .offset:         176
        .size:           8
        .value_kind:     by_value
      - .offset:         184
        .size:           8
        .value_kind:     by_value
      - .actual_access:  read_only
        .address_space:  global
        .offset:         192
        .size:           8
        .value_kind:     global_buffer
      - .offset:         200
        .size:           8
        .value_kind:     by_value
      - .offset:         208
        .size:           8
        .value_kind:     by_value
      - .offset:         216
        .size:           8
        .value_kind:     by_value
      - .offset:         224
        .size:           8
        .value_kind:     by_value
      - .offset:         232
        .size:           1
        .value_kind:     by_value
      - .offset:         240
        .size:           4
        .value_kind:     hidden_block_count_x
      - .offset:         244
        .size:           4
        .value_kind:     hidden_block_count_y
      - .offset:         248
        .size:           4
        .value_kind:     hidden_block_count_z
      - .offset:         252
        .size:           2
        .value_kind:     hidden_group_size_x
      - .offset:         254
        .size:           2
        .value_kind:     hidden_group_size_y
      - .offset:         256
        .size:           2
        .value_kind:     hidden_group_size_z
      - .offset:         258
        .size:           2
        .value_kind:     hidden_remainder_x
      - .offset:         260
        .size:           2
        .value_kind:     hidden_remainder_y
      - .offset:         262
        .size:           2
        .value_kind:     hidden_remainder_z
      - .offset:         280
        .size:           8
        .value_kind:     hidden_global_offset_x
      - .offset:         288
        .size:           8
        .value_kind:     hidden_global_offset_y
      - .offset:         296
        .size:           8
        .value_kind:     hidden_global_offset_z
      - .offset:         304
        .size:           2
        .value_kind:     hidden_grid_dims
    .group_segment_fixed_size: 0
    .kernarg_segment_align: 8
    .kernarg_segment_size: 496
    .language:       OpenCL C
    .language_version:
      - 2
      - 0
    .max_flat_workgroup_size: 896
    .name:           _ZN2at6native12_GLOBAL__N_136ctc_loss_backward_collect_gpu_kernelIdlEEvPT_PKS3_lS6_S6_S6_PKllPKT0_S8_lS6_llllllllllllS8_llllb
    .private_segment_fixed_size: 0
    .sgpr_count:     88
    .sgpr_spill_count: 0
    .symbol:         _ZN2at6native12_GLOBAL__N_136ctc_loss_backward_collect_gpu_kernelIdlEEvPT_PKS3_lS6_S6_S6_PKllPKT0_S8_lS6_llllllllllllS8_llllb.kd
    .uniform_work_group_size: 1
    .uses_dynamic_stack: false
    .vgpr_count:     45
    .vgpr_spill_count: 0
    .wavefront_size: 32
    .workgroup_processor_mode: 1
  - .args:
      - .actual_access:  write_only
        .address_space:  global
        .offset:         0
        .size:           8
        .value_kind:     global_buffer
      - .actual_access:  read_only
        .address_space:  global
        .offset:         8
        .size:           8
        .value_kind:     global_buffer
      - .offset:         16
        .size:           8
        .value_kind:     by_value
      - .offset:         24
        .size:           8
        .value_kind:     by_value
      - .offset:         32
        .size:           8
        .value_kind:     by_value
      - .offset:         40
        .size:           8
        .value_kind:     by_value
      - .offset:         48
        .size:           8
        .value_kind:     by_value
      - .offset:         56
        .size:           8
        .value_kind:     by_value
      - .offset:         64
        .size:           4
        .value_kind:     hidden_block_count_x
      - .offset:         68
        .size:           4
        .value_kind:     hidden_block_count_y
      - .offset:         72
        .size:           4
        .value_kind:     hidden_block_count_z
      - .offset:         76
        .size:           2
        .value_kind:     hidden_group_size_x
      - .offset:         78
        .size:           2
        .value_kind:     hidden_group_size_y
      - .offset:         80
        .size:           2
        .value_kind:     hidden_group_size_z
      - .offset:         82
        .size:           2
        .value_kind:     hidden_remainder_x
      - .offset:         84
        .size:           2
        .value_kind:     hidden_remainder_y
      - .offset:         86
        .size:           2
        .value_kind:     hidden_remainder_z
      - .offset:         104
        .size:           8
        .value_kind:     hidden_global_offset_x
      - .offset:         112
        .size:           8
        .value_kind:     hidden_global_offset_y
      - .offset:         120
        .size:           8
        .value_kind:     hidden_global_offset_z
      - .offset:         128
        .size:           2
        .value_kind:     hidden_grid_dims
    .group_segment_fixed_size: 0
    .kernarg_segment_align: 8
    .kernarg_segment_size: 320
    .language:       OpenCL C
    .language_version:
      - 2
      - 0
    .max_flat_workgroup_size: 896
    .name:           _ZN2at6native12_GLOBAL__N_130ctc_loss_zero_padded_gradientsIdEEvPT_PKlllllll
    .private_segment_fixed_size: 0
    .sgpr_count:     18
    .sgpr_spill_count: 0
    .symbol:         _ZN2at6native12_GLOBAL__N_130ctc_loss_zero_padded_gradientsIdEEvPT_PKlllllll.kd
    .uniform_work_group_size: 1
    .uses_dynamic_stack: false
    .vgpr_count:     14
    .vgpr_spill_count: 0
    .wavefront_size: 32
    .workgroup_processor_mode: 1
  - .args:
      - .address_space:  global
        .offset:         0
        .size:           8
        .value_kind:     global_buffer
      - .address_space:  global
        .offset:         8
        .size:           8
        .value_kind:     global_buffer
      - .actual_access:  read_only
        .address_space:  global
        .offset:         16
        .size:           8
        .value_kind:     global_buffer
      - .offset:         24
        .size:           8
        .value_kind:     by_value
      - .actual_access:  read_only
        .address_space:  global
        .offset:         32
        .size:           8
        .value_kind:     global_buffer
      - .actual_access:  read_only
        .address_space:  global
        .offset:         40
        .size:           8
        .value_kind:     global_buffer
      - .offset:         48
        .size:           8
        .value_kind:     by_value
      - .offset:         56
        .size:           8
        .value_kind:     by_value
      - .offset:         64
        .size:           8
        .value_kind:     by_value
      - .offset:         72
        .size:           8
        .value_kind:     by_value
      - .offset:         80
        .size:           8
        .value_kind:     by_value
      - .offset:         88
        .size:           8
        .value_kind:     by_value
      - .offset:         96
        .size:           8
        .value_kind:     by_value
      - .actual_access:  read_only
        .address_space:  global
        .offset:         104
        .size:           8
        .value_kind:     global_buffer
      - .offset:         112
        .size:           8
        .value_kind:     by_value
      - .offset:         120
        .size:           8
        .value_kind:     by_value
      - .offset:         128
        .size:           8
        .value_kind:     by_value
      - .offset:         136
        .size:           4
        .value_kind:     hidden_block_count_x
      - .offset:         140
        .size:           4
        .value_kind:     hidden_block_count_y
      - .offset:         144
        .size:           4
        .value_kind:     hidden_block_count_z
      - .offset:         148
        .size:           2
        .value_kind:     hidden_group_size_x
      - .offset:         150
        .size:           2
        .value_kind:     hidden_group_size_y
      - .offset:         152
        .size:           2
        .value_kind:     hidden_group_size_z
      - .offset:         154
        .size:           2
        .value_kind:     hidden_remainder_x
      - .offset:         156
        .size:           2
        .value_kind:     hidden_remainder_y
      - .offset:         158
        .size:           2
        .value_kind:     hidden_remainder_z
      - .offset:         176
        .size:           8
        .value_kind:     hidden_global_offset_x
      - .offset:         184
        .size:           8
        .value_kind:     hidden_global_offset_y
      - .offset:         192
        .size:           8
        .value_kind:     hidden_global_offset_z
      - .offset:         200
        .size:           2
        .value_kind:     hidden_grid_dims
    .group_segment_fixed_size: 0
    .kernarg_segment_align: 8
    .kernarg_segment_size: 392
    .language:       OpenCL C
    .language_version:
      - 2
      - 0
    .max_flat_workgroup_size: 896
    .name:           _ZN2at6native12_GLOBAL__N_137ctc_loss_backward_log_beta_gpu_kernelIdiEEvPT_PKS3_PKllPKT0_S8_lllllllS8_lll
    .private_segment_fixed_size: 0
    .sgpr_count:     85
    .sgpr_spill_count: 0
    .symbol:         _ZN2at6native12_GLOBAL__N_137ctc_loss_backward_log_beta_gpu_kernelIdiEEvPT_PKS3_PKllPKT0_S8_lllllllS8_lll.kd
    .uniform_work_group_size: 1
    .uses_dynamic_stack: false
    .vgpr_count:     60
    .vgpr_spill_count: 0
    .wavefront_size: 32
    .workgroup_processor_mode: 1
  - .args:
      - .address_space:  global
        .offset:         0
        .size:           8
        .value_kind:     global_buffer
      - .actual_access:  read_only
        .address_space:  global
        .offset:         8
        .size:           8
        .value_kind:     global_buffer
      - .offset:         16
        .size:           8
        .value_kind:     by_value
      - .actual_access:  read_only
        .address_space:  global
        .offset:         24
        .size:           8
        .value_kind:     global_buffer
      - .actual_access:  read_only
        .address_space:  global
        .offset:         32
        .size:           8
        .value_kind:     global_buffer
      - .address_space:  global
        .offset:         40
        .size:           8
        .value_kind:     global_buffer
      - .actual_access:  read_only
        .address_space:  global
        .offset:         48
        .size:           8
        .value_kind:     global_buffer
      - .actual_access:  read_only
        .address_space:  global
        .offset:         56
        .size:           8
        .value_kind:     global_buffer
      - .actual_access:  read_only
        .address_space:  global
        .offset:         64
        .size:           8
        .value_kind:     global_buffer
      - .actual_access:  read_only
        .address_space:  global
        .offset:         72
        .size:           8
        .value_kind:     global_buffer
      - .offset:         80
        .size:           8
        .value_kind:     by_value
      - .offset:         88
        .size:           8
        .value_kind:     by_value
      - .offset:         96
        .size:           8
        .value_kind:     by_value
      - .offset:         104
        .size:           8
        .value_kind:     by_value
      - .offset:         112
        .size:           8
        .value_kind:     by_value
      - .offset:         120
        .size:           8
        .value_kind:     by_value
      - .offset:         128
        .size:           8
        .value_kind:     by_value
      - .offset:         136
        .size:           8
        .value_kind:     by_value
      - .offset:         144
        .size:           8
        .value_kind:     by_value
      - .offset:         152
        .size:           8
        .value_kind:     by_value
      - .offset:         160
        .size:           8
        .value_kind:     by_value
      - .offset:         168
        .size:           8
        .value_kind:     by_value
      - .actual_access:  read_only
        .address_space:  global
        .offset:         176
        .size:           8
        .value_kind:     global_buffer
      - .offset:         184
        .size:           8
        .value_kind:     by_value
      - .offset:         192
        .size:           8
        .value_kind:     by_value
      - .offset:         200
        .size:           1
        .value_kind:     by_value
      - .offset:         208
        .size:           4
        .value_kind:     hidden_block_count_x
      - .offset:         212
        .size:           4
        .value_kind:     hidden_block_count_y
      - .offset:         216
        .size:           4
        .value_kind:     hidden_block_count_z
      - .offset:         220
        .size:           2
        .value_kind:     hidden_group_size_x
      - .offset:         222
        .size:           2
        .value_kind:     hidden_group_size_y
      - .offset:         224
        .size:           2
        .value_kind:     hidden_group_size_z
      - .offset:         226
        .size:           2
        .value_kind:     hidden_remainder_x
      - .offset:         228
        .size:           2
        .value_kind:     hidden_remainder_y
      - .offset:         230
        .size:           2
        .value_kind:     hidden_remainder_z
      - .offset:         248
        .size:           8
        .value_kind:     hidden_global_offset_x
      - .offset:         256
        .size:           8
        .value_kind:     hidden_global_offset_y
      - .offset:         264
        .size:           8
        .value_kind:     hidden_global_offset_z
      - .offset:         272
        .size:           2
        .value_kind:     hidden_grid_dims
    .group_segment_fixed_size: 0
    .kernarg_segment_align: 8
    .kernarg_segment_size: 464
    .language:       OpenCL C
    .language_version:
      - 2
      - 0
    .max_flat_workgroup_size: 896
    .name:           _ZN2at6native12_GLOBAL__N_145ctc_loss_backward_collect_nonblank_gpu_kernelIdiEEvPT_PKS3_lS6_S6_S6_PKlPKT0_S8_S6_llllllllllllS8_llb
    .private_segment_fixed_size: 0
    .sgpr_count:     60
    .sgpr_spill_count: 0
    .symbol:         _ZN2at6native12_GLOBAL__N_145ctc_loss_backward_collect_nonblank_gpu_kernelIdiEEvPT_PKS3_lS6_S6_S6_PKlPKT0_S8_S6_llllllllllllS8_llb.kd
    .uniform_work_group_size: 1
    .uses_dynamic_stack: false
    .vgpr_count:     28
    .vgpr_spill_count: 0
    .wavefront_size: 32
    .workgroup_processor_mode: 1
  - .args:
      - .address_space:  global
        .offset:         0
        .size:           8
        .value_kind:     global_buffer
      - .actual_access:  read_only
        .address_space:  global
        .offset:         8
        .size:           8
        .value_kind:     global_buffer
      - .offset:         16
        .size:           8
        .value_kind:     by_value
      - .actual_access:  read_only
        .address_space:  global
        .offset:         24
        .size:           8
        .value_kind:     global_buffer
      - .actual_access:  read_only
        .address_space:  global
        .offset:         32
        .size:           8
        .value_kind:     global_buffer
      - .address_space:  global
        .offset:         40
        .size:           8
        .value_kind:     global_buffer
      - .actual_access:  read_only
        .address_space:  global
        .offset:         48
        .size:           8
        .value_kind:     global_buffer
      - .offset:         56
        .size:           8
        .value_kind:     by_value
      - .actual_access:  read_only
        .address_space:  global
        .offset:         64
        .size:           8
        .value_kind:     global_buffer
      - .actual_access:  read_only
        .address_space:  global
        .offset:         72
        .size:           8
        .value_kind:     global_buffer
      - .offset:         80
        .size:           8
        .value_kind:     by_value
      - .actual_access:  read_only
        .address_space:  global
        .offset:         88
        .size:           8
        .value_kind:     global_buffer
      - .offset:         96
        .size:           8
        .value_kind:     by_value
      - .offset:         104
        .size:           8
        .value_kind:     by_value
      - .offset:         112
        .size:           8
        .value_kind:     by_value
      - .offset:         120
        .size:           8
        .value_kind:     by_value
      - .offset:         128
        .size:           8
        .value_kind:     by_value
      - .offset:         136
        .size:           8
        .value_kind:     by_value
      - .offset:         144
        .size:           8
        .value_kind:     by_value
      - .offset:         152
        .size:           8
        .value_kind:     by_value
      - .offset:         160
        .size:           8
        .value_kind:     by_value
      - .offset:         168
        .size:           8
        .value_kind:     by_value
      - .offset:         176
        .size:           8
        .value_kind:     by_value
      - .offset:         184
        .size:           8
        .value_kind:     by_value
      - .actual_access:  read_only
        .address_space:  global
        .offset:         192
        .size:           8
        .value_kind:     global_buffer
      - .offset:         200
        .size:           8
        .value_kind:     by_value
      - .offset:         208
        .size:           8
        .value_kind:     by_value
      - .offset:         216
        .size:           8
        .value_kind:     by_value
      - .offset:         224
        .size:           8
        .value_kind:     by_value
      - .offset:         232
        .size:           1
        .value_kind:     by_value
      - .offset:         240
        .size:           4
        .value_kind:     hidden_block_count_x
      - .offset:         244
        .size:           4
        .value_kind:     hidden_block_count_y
      - .offset:         248
        .size:           4
        .value_kind:     hidden_block_count_z
      - .offset:         252
        .size:           2
        .value_kind:     hidden_group_size_x
      - .offset:         254
        .size:           2
        .value_kind:     hidden_group_size_y
      - .offset:         256
        .size:           2
        .value_kind:     hidden_group_size_z
      - .offset:         258
        .size:           2
        .value_kind:     hidden_remainder_x
      - .offset:         260
        .size:           2
        .value_kind:     hidden_remainder_y
      - .offset:         262
        .size:           2
        .value_kind:     hidden_remainder_z
      - .offset:         280
        .size:           8
        .value_kind:     hidden_global_offset_x
      - .offset:         288
        .size:           8
        .value_kind:     hidden_global_offset_y
      - .offset:         296
        .size:           8
        .value_kind:     hidden_global_offset_z
      - .offset:         304
        .size:           2
        .value_kind:     hidden_grid_dims
    .group_segment_fixed_size: 0
    .kernarg_segment_align: 8
    .kernarg_segment_size: 496
    .language:       OpenCL C
    .language_version:
      - 2
      - 0
    .max_flat_workgroup_size: 896
    .name:           _ZN2at6native12_GLOBAL__N_136ctc_loss_backward_collect_gpu_kernelIdiEEvPT_PKS3_lS6_S6_S6_PKllPKT0_S8_lS6_llllllllllllS8_llllb
    .private_segment_fixed_size: 0
    .sgpr_count:     88
    .sgpr_spill_count: 0
    .symbol:         _ZN2at6native12_GLOBAL__N_136ctc_loss_backward_collect_gpu_kernelIdiEEvPT_PKS3_lS6_S6_S6_PKllPKT0_S8_lS6_llllllllllllS8_llllb.kd
    .uniform_work_group_size: 1
    .uses_dynamic_stack: false
    .vgpr_count:     45
    .vgpr_spill_count: 0
    .wavefront_size: 32
    .workgroup_processor_mode: 1
  - .args:
      - .address_space:  global
        .offset:         0
        .size:           8
        .value_kind:     global_buffer
      - .address_space:  global
        .offset:         8
        .size:           8
        .value_kind:     global_buffer
      - .actual_access:  read_only
        .address_space:  global
        .offset:         16
        .size:           8
        .value_kind:     global_buffer
      - .offset:         24
        .size:           8
        .value_kind:     by_value
      - .actual_access:  read_only
        .address_space:  global
        .offset:         32
        .size:           8
        .value_kind:     global_buffer
      - .actual_access:  read_only
        .address_space:  global
        .offset:         40
        .size:           8
        .value_kind:     global_buffer
      - .offset:         48
        .size:           8
        .value_kind:     by_value
      - .offset:         56
        .size:           8
        .value_kind:     by_value
      - .offset:         64
        .size:           8
        .value_kind:     by_value
      - .offset:         72
        .size:           8
        .value_kind:     by_value
      - .offset:         80
        .size:           8
        .value_kind:     by_value
      - .offset:         88
        .size:           8
        .value_kind:     by_value
      - .offset:         96
        .size:           8
        .value_kind:     by_value
      - .actual_access:  read_only
        .address_space:  global
        .offset:         104
        .size:           8
        .value_kind:     global_buffer
      - .offset:         112
        .size:           8
        .value_kind:     by_value
      - .offset:         120
        .size:           8
        .value_kind:     by_value
      - .offset:         128
        .size:           8
        .value_kind:     by_value
      - .offset:         136
        .size:           4
        .value_kind:     hidden_block_count_x
      - .offset:         140
        .size:           4
        .value_kind:     hidden_block_count_y
      - .offset:         144
        .size:           4
        .value_kind:     hidden_block_count_z
      - .offset:         148
        .size:           2
        .value_kind:     hidden_group_size_x
      - .offset:         150
        .size:           2
        .value_kind:     hidden_group_size_y
      - .offset:         152
        .size:           2
        .value_kind:     hidden_group_size_z
      - .offset:         154
        .size:           2
        .value_kind:     hidden_remainder_x
      - .offset:         156
        .size:           2
        .value_kind:     hidden_remainder_y
      - .offset:         158
        .size:           2
        .value_kind:     hidden_remainder_z
      - .offset:         176
        .size:           8
        .value_kind:     hidden_global_offset_x
      - .offset:         184
        .size:           8
        .value_kind:     hidden_global_offset_y
      - .offset:         192
        .size:           8
        .value_kind:     hidden_global_offset_z
      - .offset:         200
        .size:           2
        .value_kind:     hidden_grid_dims
    .group_segment_fixed_size: 0
    .kernarg_segment_align: 8
    .kernarg_segment_size: 392
    .language:       OpenCL C
    .language_version:
      - 2
      - 0
    .max_flat_workgroup_size: 1024
    .name:           _ZN2at6native12_GLOBAL__N_137ctc_loss_backward_log_beta_gpu_kernelIflEEvPT_PKS3_PKllPKT0_S8_lllllllS8_lll
    .private_segment_fixed_size: 0
    .sgpr_count:     38
    .sgpr_spill_count: 0
    .symbol:         _ZN2at6native12_GLOBAL__N_137ctc_loss_backward_log_beta_gpu_kernelIflEEvPT_PKS3_PKllPKT0_S8_lllllllS8_lll.kd
    .uniform_work_group_size: 1
    .uses_dynamic_stack: false
    .vgpr_count:     47
    .vgpr_spill_count: 0
    .wavefront_size: 32
    .workgroup_processor_mode: 1
  - .args:
      - .address_space:  global
        .offset:         0
        .size:           8
        .value_kind:     global_buffer
      - .actual_access:  read_only
        .address_space:  global
        .offset:         8
        .size:           8
        .value_kind:     global_buffer
      - .offset:         16
        .size:           8
        .value_kind:     by_value
      - .actual_access:  read_only
        .address_space:  global
        .offset:         24
        .size:           8
        .value_kind:     global_buffer
      - .actual_access:  read_only
        .address_space:  global
        .offset:         32
        .size:           8
        .value_kind:     global_buffer
      - .address_space:  global
        .offset:         40
        .size:           8
        .value_kind:     global_buffer
      - .actual_access:  read_only
        .address_space:  global
        .offset:         48
        .size:           8
        .value_kind:     global_buffer
      - .actual_access:  read_only
        .address_space:  global
        .offset:         56
        .size:           8
        .value_kind:     global_buffer
      - .actual_access:  read_only
        .address_space:  global
        .offset:         64
        .size:           8
        .value_kind:     global_buffer
      - .actual_access:  read_only
        .address_space:  global
        .offset:         72
        .size:           8
        .value_kind:     global_buffer
      - .offset:         80
        .size:           8
        .value_kind:     by_value
      - .offset:         88
        .size:           8
        .value_kind:     by_value
      - .offset:         96
        .size:           8
        .value_kind:     by_value
      - .offset:         104
        .size:           8
        .value_kind:     by_value
      - .offset:         112
        .size:           8
        .value_kind:     by_value
      - .offset:         120
        .size:           8
        .value_kind:     by_value
      - .offset:         128
        .size:           8
        .value_kind:     by_value
      - .offset:         136
        .size:           8
        .value_kind:     by_value
      - .offset:         144
        .size:           8
        .value_kind:     by_value
      - .offset:         152
        .size:           8
        .value_kind:     by_value
      - .offset:         160
        .size:           8
        .value_kind:     by_value
      - .offset:         168
        .size:           8
        .value_kind:     by_value
      - .actual_access:  read_only
        .address_space:  global
        .offset:         176
        .size:           8
        .value_kind:     global_buffer
      - .offset:         184
        .size:           8
        .value_kind:     by_value
      - .offset:         192
        .size:           8
        .value_kind:     by_value
      - .offset:         200
        .size:           1
        .value_kind:     by_value
      - .offset:         208
        .size:           4
        .value_kind:     hidden_block_count_x
      - .offset:         212
        .size:           4
        .value_kind:     hidden_block_count_y
      - .offset:         216
        .size:           4
        .value_kind:     hidden_block_count_z
      - .offset:         220
        .size:           2
        .value_kind:     hidden_group_size_x
      - .offset:         222
        .size:           2
        .value_kind:     hidden_group_size_y
      - .offset:         224
        .size:           2
        .value_kind:     hidden_group_size_z
      - .offset:         226
        .size:           2
        .value_kind:     hidden_remainder_x
      - .offset:         228
        .size:           2
        .value_kind:     hidden_remainder_y
      - .offset:         230
        .size:           2
        .value_kind:     hidden_remainder_z
      - .offset:         248
        .size:           8
        .value_kind:     hidden_global_offset_x
      - .offset:         256
        .size:           8
        .value_kind:     hidden_global_offset_y
      - .offset:         264
        .size:           8
        .value_kind:     hidden_global_offset_z
      - .offset:         272
        .size:           2
        .value_kind:     hidden_grid_dims
    .group_segment_fixed_size: 0
    .kernarg_segment_align: 8
    .kernarg_segment_size: 464
    .language:       OpenCL C
    .language_version:
      - 2
      - 0
    .max_flat_workgroup_size: 1024
    .name:           _ZN2at6native12_GLOBAL__N_145ctc_loss_backward_collect_nonblank_gpu_kernelIflEEvPT_PKS3_lS6_S6_S6_PKlPKT0_S8_S6_llllllllllllS8_llb
    .private_segment_fixed_size: 0
    .sgpr_count:     46
    .sgpr_spill_count: 0
    .symbol:         _ZN2at6native12_GLOBAL__N_145ctc_loss_backward_collect_nonblank_gpu_kernelIflEEvPT_PKS3_lS6_S6_S6_PKlPKT0_S8_S6_llllllllllllS8_llb.kd
    .uniform_work_group_size: 1
    .uses_dynamic_stack: false
    .vgpr_count:     27
    .vgpr_spill_count: 0
    .wavefront_size: 32
    .workgroup_processor_mode: 1
  - .args:
      - .address_space:  global
        .offset:         0
        .size:           8
        .value_kind:     global_buffer
      - .actual_access:  read_only
        .address_space:  global
        .offset:         8
        .size:           8
        .value_kind:     global_buffer
      - .offset:         16
        .size:           8
        .value_kind:     by_value
      - .actual_access:  read_only
        .address_space:  global
        .offset:         24
        .size:           8
        .value_kind:     global_buffer
      - .actual_access:  read_only
        .address_space:  global
        .offset:         32
        .size:           8
        .value_kind:     global_buffer
      - .address_space:  global
        .offset:         40
        .size:           8
        .value_kind:     global_buffer
      - .actual_access:  read_only
        .address_space:  global
        .offset:         48
        .size:           8
        .value_kind:     global_buffer
      - .offset:         56
        .size:           8
        .value_kind:     by_value
      - .actual_access:  read_only
        .address_space:  global
        .offset:         64
        .size:           8
        .value_kind:     global_buffer
      - .actual_access:  read_only
        .address_space:  global
        .offset:         72
        .size:           8
        .value_kind:     global_buffer
      - .offset:         80
        .size:           8
        .value_kind:     by_value
      - .actual_access:  read_only
        .address_space:  global
        .offset:         88
        .size:           8
        .value_kind:     global_buffer
      - .offset:         96
        .size:           8
        .value_kind:     by_value
      - .offset:         104
        .size:           8
        .value_kind:     by_value
      - .offset:         112
        .size:           8
        .value_kind:     by_value
      - .offset:         120
        .size:           8
        .value_kind:     by_value
      - .offset:         128
        .size:           8
        .value_kind:     by_value
      - .offset:         136
        .size:           8
        .value_kind:     by_value
      - .offset:         144
        .size:           8
        .value_kind:     by_value
      - .offset:         152
        .size:           8
        .value_kind:     by_value
      - .offset:         160
        .size:           8
        .value_kind:     by_value
      - .offset:         168
        .size:           8
        .value_kind:     by_value
      - .offset:         176
        .size:           8
        .value_kind:     by_value
      - .offset:         184
        .size:           8
        .value_kind:     by_value
      - .actual_access:  read_only
        .address_space:  global
        .offset:         192
        .size:           8
        .value_kind:     global_buffer
      - .offset:         200
        .size:           8
        .value_kind:     by_value
      - .offset:         208
        .size:           8
        .value_kind:     by_value
      - .offset:         216
        .size:           8
        .value_kind:     by_value
      - .offset:         224
        .size:           8
        .value_kind:     by_value
      - .offset:         232
        .size:           1
        .value_kind:     by_value
      - .offset:         240
        .size:           4
        .value_kind:     hidden_block_count_x
      - .offset:         244
        .size:           4
        .value_kind:     hidden_block_count_y
      - .offset:         248
        .size:           4
        .value_kind:     hidden_block_count_z
      - .offset:         252
        .size:           2
        .value_kind:     hidden_group_size_x
      - .offset:         254
        .size:           2
        .value_kind:     hidden_group_size_y
      - .offset:         256
        .size:           2
        .value_kind:     hidden_group_size_z
      - .offset:         258
        .size:           2
        .value_kind:     hidden_remainder_x
      - .offset:         260
        .size:           2
        .value_kind:     hidden_remainder_y
      - .offset:         262
        .size:           2
        .value_kind:     hidden_remainder_z
      - .offset:         280
        .size:           8
        .value_kind:     hidden_global_offset_x
      - .offset:         288
        .size:           8
        .value_kind:     hidden_global_offset_y
      - .offset:         296
        .size:           8
        .value_kind:     hidden_global_offset_z
      - .offset:         304
        .size:           2
        .value_kind:     hidden_grid_dims
    .group_segment_fixed_size: 0
    .kernarg_segment_align: 8
    .kernarg_segment_size: 496
    .language:       OpenCL C
    .language_version:
      - 2
      - 0
    .max_flat_workgroup_size: 1024
    .name:           _ZN2at6native12_GLOBAL__N_136ctc_loss_backward_collect_gpu_kernelIflEEvPT_PKS3_lS6_S6_S6_PKllPKT0_S8_lS6_llllllllllllS8_llllb
    .private_segment_fixed_size: 0
    .sgpr_count:     50
    .sgpr_spill_count: 0
    .symbol:         _ZN2at6native12_GLOBAL__N_136ctc_loss_backward_collect_gpu_kernelIflEEvPT_PKS3_lS6_S6_S6_PKllPKT0_S8_lS6_llllllllllllS8_llllb.kd
    .uniform_work_group_size: 1
    .uses_dynamic_stack: false
    .vgpr_count:     31
    .vgpr_spill_count: 0
    .wavefront_size: 32
    .workgroup_processor_mode: 1
  - .args:
      - .actual_access:  write_only
        .address_space:  global
        .offset:         0
        .size:           8
        .value_kind:     global_buffer
      - .actual_access:  read_only
        .address_space:  global
        .offset:         8
        .size:           8
        .value_kind:     global_buffer
      - .offset:         16
        .size:           8
        .value_kind:     by_value
      - .offset:         24
        .size:           8
        .value_kind:     by_value
      - .offset:         32
        .size:           8
        .value_kind:     by_value
      - .offset:         40
        .size:           8
        .value_kind:     by_value
      - .offset:         48
        .size:           8
        .value_kind:     by_value
      - .offset:         56
        .size:           8
        .value_kind:     by_value
      - .offset:         64
        .size:           4
        .value_kind:     hidden_block_count_x
      - .offset:         68
        .size:           4
        .value_kind:     hidden_block_count_y
      - .offset:         72
        .size:           4
        .value_kind:     hidden_block_count_z
      - .offset:         76
        .size:           2
        .value_kind:     hidden_group_size_x
      - .offset:         78
        .size:           2
        .value_kind:     hidden_group_size_y
      - .offset:         80
        .size:           2
        .value_kind:     hidden_group_size_z
      - .offset:         82
        .size:           2
        .value_kind:     hidden_remainder_x
      - .offset:         84
        .size:           2
        .value_kind:     hidden_remainder_y
      - .offset:         86
        .size:           2
        .value_kind:     hidden_remainder_z
      - .offset:         104
        .size:           8
        .value_kind:     hidden_global_offset_x
      - .offset:         112
        .size:           8
        .value_kind:     hidden_global_offset_y
      - .offset:         120
        .size:           8
        .value_kind:     hidden_global_offset_z
      - .offset:         128
        .size:           2
        .value_kind:     hidden_grid_dims
    .group_segment_fixed_size: 0
    .kernarg_segment_align: 8
    .kernarg_segment_size: 320
    .language:       OpenCL C
    .language_version:
      - 2
      - 0
    .max_flat_workgroup_size: 1024
    .name:           _ZN2at6native12_GLOBAL__N_130ctc_loss_zero_padded_gradientsIfEEvPT_PKlllllll
    .private_segment_fixed_size: 0
    .sgpr_count:     18
    .sgpr_spill_count: 0
    .symbol:         _ZN2at6native12_GLOBAL__N_130ctc_loss_zero_padded_gradientsIfEEvPT_PKlllllll.kd
    .uniform_work_group_size: 1
    .uses_dynamic_stack: false
    .vgpr_count:     9
    .vgpr_spill_count: 0
    .wavefront_size: 32
    .workgroup_processor_mode: 1
  - .args:
      - .address_space:  global
        .offset:         0
        .size:           8
        .value_kind:     global_buffer
      - .address_space:  global
        .offset:         8
        .size:           8
        .value_kind:     global_buffer
      - .actual_access:  read_only
        .address_space:  global
        .offset:         16
        .size:           8
        .value_kind:     global_buffer
      - .offset:         24
        .size:           8
        .value_kind:     by_value
      - .actual_access:  read_only
        .address_space:  global
        .offset:         32
        .size:           8
        .value_kind:     global_buffer
      - .actual_access:  read_only
        .address_space:  global
        .offset:         40
        .size:           8
        .value_kind:     global_buffer
      - .offset:         48
        .size:           8
        .value_kind:     by_value
      - .offset:         56
        .size:           8
        .value_kind:     by_value
      - .offset:         64
        .size:           8
        .value_kind:     by_value
      - .offset:         72
        .size:           8
        .value_kind:     by_value
      - .offset:         80
        .size:           8
        .value_kind:     by_value
      - .offset:         88
        .size:           8
        .value_kind:     by_value
      - .offset:         96
        .size:           8
        .value_kind:     by_value
      - .actual_access:  read_only
        .address_space:  global
        .offset:         104
        .size:           8
        .value_kind:     global_buffer
      - .offset:         112
        .size:           8
        .value_kind:     by_value
      - .offset:         120
        .size:           8
        .value_kind:     by_value
      - .offset:         128
        .size:           8
        .value_kind:     by_value
      - .offset:         136
        .size:           4
        .value_kind:     hidden_block_count_x
      - .offset:         140
        .size:           4
        .value_kind:     hidden_block_count_y
      - .offset:         144
        .size:           4
        .value_kind:     hidden_block_count_z
      - .offset:         148
        .size:           2
        .value_kind:     hidden_group_size_x
      - .offset:         150
        .size:           2
        .value_kind:     hidden_group_size_y
      - .offset:         152
        .size:           2
        .value_kind:     hidden_group_size_z
      - .offset:         154
        .size:           2
        .value_kind:     hidden_remainder_x
      - .offset:         156
        .size:           2
        .value_kind:     hidden_remainder_y
      - .offset:         158
        .size:           2
        .value_kind:     hidden_remainder_z
      - .offset:         176
        .size:           8
        .value_kind:     hidden_global_offset_x
      - .offset:         184
        .size:           8
        .value_kind:     hidden_global_offset_y
      - .offset:         192
        .size:           8
        .value_kind:     hidden_global_offset_z
      - .offset:         200
        .size:           2
        .value_kind:     hidden_grid_dims
    .group_segment_fixed_size: 0
    .kernarg_segment_align: 8
    .kernarg_segment_size: 392
    .language:       OpenCL C
    .language_version:
      - 2
      - 0
    .max_flat_workgroup_size: 1024
    .name:           _ZN2at6native12_GLOBAL__N_137ctc_loss_backward_log_beta_gpu_kernelIfiEEvPT_PKS3_PKllPKT0_S8_lllllllS8_lll
    .private_segment_fixed_size: 0
    .sgpr_count:     38
    .sgpr_spill_count: 0
    .symbol:         _ZN2at6native12_GLOBAL__N_137ctc_loss_backward_log_beta_gpu_kernelIfiEEvPT_PKS3_PKllPKT0_S8_lllllllS8_lll.kd
    .uniform_work_group_size: 1
    .uses_dynamic_stack: false
    .vgpr_count:     47
    .vgpr_spill_count: 0
    .wavefront_size: 32
    .workgroup_processor_mode: 1
  - .args:
      - .address_space:  global
        .offset:         0
        .size:           8
        .value_kind:     global_buffer
      - .actual_access:  read_only
        .address_space:  global
        .offset:         8
        .size:           8
        .value_kind:     global_buffer
      - .offset:         16
        .size:           8
        .value_kind:     by_value
      - .actual_access:  read_only
        .address_space:  global
        .offset:         24
        .size:           8
        .value_kind:     global_buffer
      - .actual_access:  read_only
        .address_space:  global
        .offset:         32
        .size:           8
        .value_kind:     global_buffer
      - .address_space:  global
        .offset:         40
        .size:           8
        .value_kind:     global_buffer
      - .actual_access:  read_only
        .address_space:  global
        .offset:         48
        .size:           8
        .value_kind:     global_buffer
      - .actual_access:  read_only
        .address_space:  global
        .offset:         56
        .size:           8
        .value_kind:     global_buffer
      - .actual_access:  read_only
        .address_space:  global
        .offset:         64
        .size:           8
        .value_kind:     global_buffer
      - .actual_access:  read_only
        .address_space:  global
        .offset:         72
        .size:           8
        .value_kind:     global_buffer
      - .offset:         80
        .size:           8
        .value_kind:     by_value
      - .offset:         88
        .size:           8
        .value_kind:     by_value
      - .offset:         96
        .size:           8
        .value_kind:     by_value
      - .offset:         104
        .size:           8
        .value_kind:     by_value
      - .offset:         112
        .size:           8
        .value_kind:     by_value
      - .offset:         120
        .size:           8
        .value_kind:     by_value
      - .offset:         128
        .size:           8
        .value_kind:     by_value
      - .offset:         136
        .size:           8
        .value_kind:     by_value
      - .offset:         144
        .size:           8
        .value_kind:     by_value
      - .offset:         152
        .size:           8
        .value_kind:     by_value
      - .offset:         160
        .size:           8
        .value_kind:     by_value
      - .offset:         168
        .size:           8
        .value_kind:     by_value
      - .actual_access:  read_only
        .address_space:  global
        .offset:         176
        .size:           8
        .value_kind:     global_buffer
      - .offset:         184
        .size:           8
        .value_kind:     by_value
      - .offset:         192
        .size:           8
        .value_kind:     by_value
      - .offset:         200
        .size:           1
        .value_kind:     by_value
      - .offset:         208
        .size:           4
        .value_kind:     hidden_block_count_x
      - .offset:         212
        .size:           4
        .value_kind:     hidden_block_count_y
      - .offset:         216
        .size:           4
        .value_kind:     hidden_block_count_z
      - .offset:         220
        .size:           2
        .value_kind:     hidden_group_size_x
      - .offset:         222
        .size:           2
        .value_kind:     hidden_group_size_y
      - .offset:         224
        .size:           2
        .value_kind:     hidden_group_size_z
      - .offset:         226
        .size:           2
        .value_kind:     hidden_remainder_x
      - .offset:         228
        .size:           2
        .value_kind:     hidden_remainder_y
      - .offset:         230
        .size:           2
        .value_kind:     hidden_remainder_z
      - .offset:         248
        .size:           8
        .value_kind:     hidden_global_offset_x
      - .offset:         256
        .size:           8
        .value_kind:     hidden_global_offset_y
      - .offset:         264
        .size:           8
        .value_kind:     hidden_global_offset_z
      - .offset:         272
        .size:           2
        .value_kind:     hidden_grid_dims
    .group_segment_fixed_size: 0
    .kernarg_segment_align: 8
    .kernarg_segment_size: 464
    .language:       OpenCL C
    .language_version:
      - 2
      - 0
    .max_flat_workgroup_size: 1024
    .name:           _ZN2at6native12_GLOBAL__N_145ctc_loss_backward_collect_nonblank_gpu_kernelIfiEEvPT_PKS3_lS6_S6_S6_PKlPKT0_S8_S6_llllllllllllS8_llb
    .private_segment_fixed_size: 0
    .sgpr_count:     46
    .sgpr_spill_count: 0
    .symbol:         _ZN2at6native12_GLOBAL__N_145ctc_loss_backward_collect_nonblank_gpu_kernelIfiEEvPT_PKS3_lS6_S6_S6_PKlPKT0_S8_S6_llllllllllllS8_llb.kd
    .uniform_work_group_size: 1
    .uses_dynamic_stack: false
    .vgpr_count:     26
    .vgpr_spill_count: 0
    .wavefront_size: 32
    .workgroup_processor_mode: 1
  - .args:
      - .address_space:  global
        .offset:         0
        .size:           8
        .value_kind:     global_buffer
      - .actual_access:  read_only
        .address_space:  global
        .offset:         8
        .size:           8
        .value_kind:     global_buffer
      - .offset:         16
        .size:           8
        .value_kind:     by_value
      - .actual_access:  read_only
        .address_space:  global
        .offset:         24
        .size:           8
        .value_kind:     global_buffer
      - .actual_access:  read_only
        .address_space:  global
        .offset:         32
        .size:           8
        .value_kind:     global_buffer
      - .address_space:  global
        .offset:         40
        .size:           8
        .value_kind:     global_buffer
      - .actual_access:  read_only
        .address_space:  global
        .offset:         48
        .size:           8
        .value_kind:     global_buffer
      - .offset:         56
        .size:           8
        .value_kind:     by_value
      - .actual_access:  read_only
        .address_space:  global
        .offset:         64
        .size:           8
        .value_kind:     global_buffer
      - .actual_access:  read_only
        .address_space:  global
        .offset:         72
        .size:           8
        .value_kind:     global_buffer
      - .offset:         80
        .size:           8
        .value_kind:     by_value
      - .actual_access:  read_only
        .address_space:  global
        .offset:         88
        .size:           8
        .value_kind:     global_buffer
      - .offset:         96
        .size:           8
        .value_kind:     by_value
      - .offset:         104
        .size:           8
        .value_kind:     by_value
      - .offset:         112
        .size:           8
        .value_kind:     by_value
      - .offset:         120
        .size:           8
        .value_kind:     by_value
      - .offset:         128
        .size:           8
        .value_kind:     by_value
      - .offset:         136
        .size:           8
        .value_kind:     by_value
      - .offset:         144
        .size:           8
        .value_kind:     by_value
      - .offset:         152
        .size:           8
        .value_kind:     by_value
      - .offset:         160
        .size:           8
        .value_kind:     by_value
      - .offset:         168
        .size:           8
        .value_kind:     by_value
      - .offset:         176
        .size:           8
        .value_kind:     by_value
      - .offset:         184
        .size:           8
        .value_kind:     by_value
      - .actual_access:  read_only
        .address_space:  global
        .offset:         192
        .size:           8
        .value_kind:     global_buffer
      - .offset:         200
        .size:           8
        .value_kind:     by_value
      - .offset:         208
        .size:           8
        .value_kind:     by_value
      - .offset:         216
        .size:           8
        .value_kind:     by_value
      - .offset:         224
        .size:           8
        .value_kind:     by_value
      - .offset:         232
        .size:           1
        .value_kind:     by_value
      - .offset:         240
        .size:           4
        .value_kind:     hidden_block_count_x
      - .offset:         244
        .size:           4
        .value_kind:     hidden_block_count_y
      - .offset:         248
        .size:           4
        .value_kind:     hidden_block_count_z
      - .offset:         252
        .size:           2
        .value_kind:     hidden_group_size_x
      - .offset:         254
        .size:           2
        .value_kind:     hidden_group_size_y
      - .offset:         256
        .size:           2
        .value_kind:     hidden_group_size_z
      - .offset:         258
        .size:           2
        .value_kind:     hidden_remainder_x
      - .offset:         260
        .size:           2
        .value_kind:     hidden_remainder_y
      - .offset:         262
        .size:           2
        .value_kind:     hidden_remainder_z
      - .offset:         280
        .size:           8
        .value_kind:     hidden_global_offset_x
      - .offset:         288
        .size:           8
        .value_kind:     hidden_global_offset_y
      - .offset:         296
        .size:           8
        .value_kind:     hidden_global_offset_z
      - .offset:         304
        .size:           2
        .value_kind:     hidden_grid_dims
    .group_segment_fixed_size: 0
    .kernarg_segment_align: 8
    .kernarg_segment_size: 496
    .language:       OpenCL C
    .language_version:
      - 2
      - 0
    .max_flat_workgroup_size: 1024
    .name:           _ZN2at6native12_GLOBAL__N_136ctc_loss_backward_collect_gpu_kernelIfiEEvPT_PKS3_lS6_S6_S6_PKllPKT0_S8_lS6_llllllllllllS8_llllb
    .private_segment_fixed_size: 0
    .sgpr_count:     50
    .sgpr_spill_count: 0
    .symbol:         _ZN2at6native12_GLOBAL__N_136ctc_loss_backward_collect_gpu_kernelIfiEEvPT_PKS3_lS6_S6_S6_PKllPKT0_S8_lS6_llllllllllllS8_llllb.kd
    .uniform_work_group_size: 1
    .uses_dynamic_stack: false
    .vgpr_count:     31
    .vgpr_spill_count: 0
    .wavefront_size: 32
    .workgroup_processor_mode: 1
amdhsa.target:   amdgcn-amd-amdhsa--gfx1201
amdhsa.version:
  - 1
  - 2
...

	.end_amdgpu_metadata
